;; amdgpu-corpus repo=ROCm/rocFFT kind=compiled arch=gfx950 opt=O3
	.text
	.amdgcn_target "amdgcn-amd-amdhsa--gfx950"
	.amdhsa_code_object_version 6
	.protected	bluestein_single_back_len1088_dim1_dp_op_CI_CI ; -- Begin function bluestein_single_back_len1088_dim1_dp_op_CI_CI
	.globl	bluestein_single_back_len1088_dim1_dp_op_CI_CI
	.p2align	8
	.type	bluestein_single_back_len1088_dim1_dp_op_CI_CI,@function
bluestein_single_back_len1088_dim1_dp_op_CI_CI: ; @bluestein_single_back_len1088_dim1_dp_op_CI_CI
; %bb.0:
	s_load_dwordx4 s[8:11], s[0:1], 0x28
	v_mul_u32_u24_e32 v1, 0x3c4, v0
	v_lshrrev_b32_e32 v2, 16, v1
	v_mad_u64_u32 v[246:247], s[2:3], s2, 3, v[2:3]
	v_mov_b32_e32 v247, 0
	s_waitcnt lgkmcnt(0)
	v_cmp_gt_u64_e32 vcc, s[8:9], v[246:247]
	s_and_saveexec_b64 s[2:3], vcc
	s_cbranch_execz .LBB0_15
; %bb.1:
	v_mul_lo_u16_e32 v1, 0x44, v2
	s_mov_b32 s4, 0xaaaaaaab
	v_sub_u16_e32 v252, v0, v1
	v_mul_hi_u32 v0, v246, s4
	v_lshrrev_b32_e32 v0, 1, v0
	s_load_dwordx2 s[2:3], s[0:1], 0x0
	s_load_dwordx2 s[8:9], s[0:1], 0x38
	v_lshl_add_u32 v0, v0, 1, v0
	v_sub_u32_e32 v0, v246, v0
	v_mul_u32_u24_e32 v244, 0x440, v0
	v_or_b32_e32 v0, v244, v252
	v_cmp_gt_u16_e32 vcc, 64, v252
	v_lshlrev_b32_e32 v242, 4, v252
	v_lshlrev_b32_e32 v245, 4, v0
	v_or_b32_e32 v243, 64, v252
	s_and_saveexec_b64 s[12:13], vcc
	s_cbranch_execz .LBB0_3
; %bb.2:
	s_load_dwordx2 s[4:5], s[0:1], 0x18
	v_mov_b32_e32 v0, s10
	v_mov_b32_e32 v1, s11
	v_or_b32_e32 v24, 0x100, v252
	v_or_b32_e32 v65, 0x140, v252
	s_waitcnt lgkmcnt(0)
	s_load_dwordx4 s[4:7], s[4:5], 0x0
	v_or_b32_e32 v67, 0x180, v252
	v_or_b32_e32 v69, 0x1c0, v252
	;; [unrolled: 1-line block ×4, first 2 shown]
	s_waitcnt lgkmcnt(0)
	v_mad_u64_u32 v[2:3], s[10:11], s6, v246, 0
	v_mad_u64_u32 v[4:5], s[10:11], s4, v252, 0
	v_mov_b32_e32 v6, v3
	v_mov_b32_e32 v8, v5
	v_mad_u64_u32 v[6:7], s[6:7], s7, v246, v[6:7]
	v_mov_b32_e32 v3, v6
	v_mad_u64_u32 v[6:7], s[6:7], s5, v252, v[8:9]
	v_mov_b32_e32 v5, v6
	v_lshl_add_u64 v[20:21], v[2:3], 4, v[0:1]
	v_lshl_add_u64 v[8:9], v[4:5], 4, v[20:21]
	v_or_b32_e32 v23, 0xc0, v252
	v_lshlrev_b32_e32 v25, 4, v24
	v_lshlrev_b32_e32 v46, 4, v65
	;; [unrolled: 1-line block ×5, first 2 shown]
	global_load_dwordx4 v[0:3], v242, s[2:3]
	global_load_dwordx4 v[4:7], v[8:9], off
	s_nop 0
	global_load_dwordx4 v[8:11], v242, s[2:3] offset:1024
	global_load_dwordx4 v[12:15], v242, s[2:3] offset:2048
	;; [unrolled: 1-line block ×3, first 2 shown]
	global_load_dwordx4 v[26:29], v25, s[2:3]
	global_load_dwordx4 v[30:33], v46, s[2:3]
	;; [unrolled: 1-line block ×5, first 2 shown]
	v_mad_u64_u32 v[46:47], s[6:7], s4, v243, 0
	v_mad_u64_u32 v[48:49], s[6:7], s4, v22, 0
	;; [unrolled: 1-line block ×7, first 2 shown]
	v_mov_b32_e32 v60, v47
	v_mov_b32_e32 v62, v49
	;; [unrolled: 1-line block ×7, first 2 shown]
	v_mad_u64_u32 v[60:61], s[6:7], s5, v243, v[60:61]
	v_mad_u64_u32 v[62:63], s[6:7], s5, v22, v[62:63]
	;; [unrolled: 1-line block ×7, first 2 shown]
	v_mov_b32_e32 v47, v60
	v_mov_b32_e32 v55, v64
	;; [unrolled: 1-line block ×7, first 2 shown]
	v_lshl_add_u64 v[70:71], v[46:47], 4, v[20:21]
	v_lshl_add_u64 v[78:79], v[54:55], 4, v[20:21]
	;; [unrolled: 1-line block ×7, first 2 shown]
	global_load_dwordx4 v[22:25], v[70:71], off
	global_load_dwordx4 v[46:49], v[72:73], off
	;; [unrolled: 1-line block ×7, first 2 shown]
	v_or_b32_e32 v78, 0x200, v252
	v_mad_u64_u32 v[72:73], s[6:7], s4, v78, 0
	v_mov_b32_e32 v74, v73
	v_mad_u64_u32 v[74:75], s[6:7], s5, v78, v[74:75]
	v_mov_b32_e32 v73, v74
	v_lshl_add_u64 v[72:73], v[72:73], 4, v[20:21]
	global_load_dwordx4 v[74:77], v[72:73], off
	v_lshlrev_b32_e32 v72, 4, v78
	v_or_b32_e32 v86, 0x240, v252
	global_load_dwordx4 v[78:81], v72, s[2:3]
	v_mad_u64_u32 v[72:73], s[6:7], s4, v86, 0
	v_mov_b32_e32 v82, v73
	v_mad_u64_u32 v[82:83], s[6:7], s5, v86, v[82:83]
	v_mov_b32_e32 v73, v82
	v_lshl_add_u64 v[72:73], v[72:73], 4, v[20:21]
	global_load_dwordx4 v[82:85], v[72:73], off
	v_lshlrev_b32_e32 v72, 4, v86
	v_or_b32_e32 v94, 0x280, v252
	global_load_dwordx4 v[86:89], v72, s[2:3]
	;; [unrolled: 9-line block ×7, first 2 shown]
	v_mad_u64_u32 v[72:73], s[6:7], s4, v134, 0
	v_mov_b32_e32 v130, v73
	v_mad_u64_u32 v[130:131], s[6:7], s5, v134, v[130:131]
	v_mov_b32_e32 v73, v130
	v_lshl_add_u64 v[72:73], v[72:73], 4, v[20:21]
	global_load_dwordx4 v[130:133], v[72:73], off
	v_lshlrev_b32_e32 v72, 4, v134
	global_load_dwordx4 v[134:137], v72, s[2:3]
	v_mad_u64_u32 v[72:73], s[6:7], s4, v139, 0
	v_mov_b32_e32 v138, v73
	v_mad_u64_u32 v[138:139], s[4:5], s5, v139, v[138:139]
	v_mov_b32_e32 v73, v138
	v_lshl_add_u64 v[20:21], v[72:73], 4, v[20:21]
	global_load_dwordx4 v[138:141], v[20:21], off
	s_waitcnt vmcnt(32)
	v_mul_f64 v[70:71], v[6:7], v[2:3]
	v_mul_f64 v[2:3], v[4:5], v[2:3]
	v_fmac_f64_e32 v[70:71], v[4:5], v[0:1]
	v_fma_f64 v[72:73], v[6:7], v[0:1], -v[2:3]
	s_waitcnt vmcnt(23)
	v_mul_f64 v[0:1], v[24:25], v[10:11]
	v_mul_f64 v[2:3], v[22:23], v[10:11]
	v_fmac_f64_e32 v[0:1], v[22:23], v[8:9]
	v_lshl_add_u32 v4, v244, 4, v242
	v_fma_f64 v[2:3], v[24:25], v[8:9], -v[2:3]
	ds_write_b128 v245, v[70:73]
	ds_write_b128 v4, v[0:3] offset:1024
	s_waitcnt vmcnt(22)
	v_mul_f64 v[0:1], v[48:49], v[14:15]
	v_mul_f64 v[2:3], v[46:47], v[14:15]
	v_fmac_f64_e32 v[0:1], v[46:47], v[12:13]
	v_fma_f64 v[2:3], v[48:49], v[12:13], -v[2:3]
	ds_write_b128 v4, v[0:3] offset:2048
	s_waitcnt vmcnt(21)
	v_mul_f64 v[0:1], v[52:53], v[18:19]
	v_mul_f64 v[2:3], v[50:51], v[18:19]
	v_fmac_f64_e32 v[0:1], v[50:51], v[16:17]
	v_fma_f64 v[2:3], v[52:53], v[16:17], -v[2:3]
	;; [unrolled: 6-line block ×15, first 2 shown]
	ds_write_b128 v4, v[0:3] offset:16384
.LBB0_3:
	s_or_b64 exec, exec, s[12:13]
	s_load_dwordx2 s[4:5], s[0:1], 0x20
	s_load_dwordx2 s[10:11], s[0:1], 0x8
	v_lshlrev_b32_e32 v247, 4, v244
	s_waitcnt lgkmcnt(0)
	s_barrier
	s_waitcnt lgkmcnt(0)
                                        ; implicit-def: $vgpr4_vgpr5
                                        ; implicit-def: $vgpr8_vgpr9
                                        ; implicit-def: $vgpr16_vgpr17
                                        ; implicit-def: $vgpr24_vgpr25
                                        ; implicit-def: $vgpr36_vgpr37
                                        ; implicit-def: $vgpr44_vgpr45
                                        ; implicit-def: $vgpr52_vgpr53
                                        ; implicit-def: $vgpr64_vgpr65
                                        ; implicit-def: $vgpr68_vgpr69
                                        ; implicit-def: $vgpr60_vgpr61
                                        ; implicit-def: $vgpr56_vgpr57
                                        ; implicit-def: $vgpr48_vgpr49
                                        ; implicit-def: $vgpr40_vgpr41
                                        ; implicit-def: $vgpr32_vgpr33
                                        ; implicit-def: $vgpr28_vgpr29
                                        ; implicit-def: $vgpr20_vgpr21
                                        ; implicit-def: $vgpr12_vgpr13
	s_and_saveexec_b64 s[0:1], vcc
	s_cbranch_execz .LBB0_5
; %bb.4:
	v_lshl_add_u32 v0, v252, 4, v247
	ds_read_b128 v[4:7], v245
	ds_read_b128 v[12:15], v0 offset:1024
	ds_read_b128 v[20:23], v0 offset:2048
	;; [unrolled: 1-line block ×16, first 2 shown]
.LBB0_5:
	s_or_b64 exec, exec, s[0:1]
	s_mov_b32 s26, 0x5d8e7cdc
	s_waitcnt lgkmcnt(0)
	v_add_f64 v[148:149], v[14:15], -v[70:71]
	s_mov_b32 s6, 0x370991
	s_mov_b32 s27, 0xbfd71e95
	;; [unrolled: 1-line block ×3, first 2 shown]
	v_add_f64 v[122:123], v[68:69], v[12:13]
	v_add_f64 v[126:127], v[12:13], -v[68:69]
	s_mov_b32 s7, 0x3fedd6d0
	v_mul_f64 v[116:117], v[148:149], s[26:27]
	v_add_f64 v[158:159], v[22:23], -v[66:67]
	s_mov_b32 s12, 0x75d4884
	s_mov_b32 s15, 0xbfe58eea
	v_add_f64 v[162:163], v[70:71], v[14:15]
	v_mul_f64 v[118:119], v[126:127], s[26:27]
	v_fma_f64 v[0:1], s[6:7], v[122:123], v[116:117]
	v_add_f64 v[130:131], v[64:65], v[20:21]
	v_add_f64 v[136:137], v[20:21], -v[64:65]
	s_mov_b32 s13, 0x3fe7a5f6
	v_mul_f64 v[120:121], v[158:159], s[14:15]
	s_mov_b32 s36, 0x7c9e640b
	v_add_f64 v[0:1], v[4:5], v[0:1]
	v_fma_f64 v[2:3], v[162:163], s[6:7], -v[118:119]
	v_add_f64 v[150:151], v[66:67], v[22:23]
	v_mul_f64 v[124:125], v[136:137], s[14:15]
	v_fma_f64 v[72:73], s[12:13], v[130:131], v[120:121]
	v_add_f64 v[174:175], v[10:11], -v[62:63]
	s_mov_b32 s16, 0x2b2883cd
	s_mov_b32 s37, 0xbfeca52d
	v_add_f64 v[2:3], v[6:7], v[2:3]
	v_add_f64 v[0:1], v[72:73], v[0:1]
	v_fma_f64 v[72:73], v[150:151], s[12:13], -v[124:125]
	v_add_f64 v[138:139], v[8:9], v[60:61]
	v_add_f64 v[146:147], v[8:9], -v[60:61]
	s_mov_b32 s17, 0x3fdc86fa
	v_mul_f64 v[128:129], v[174:175], s[36:37]
	v_add_f64 v[72:73], v[72:73], v[2:3]
	v_add_f64 v[2:3], v[10:11], v[62:63]
	v_mul_f64 v[132:133], v[146:147], s[36:37]
	v_fma_f64 v[74:75], s[16:17], v[138:139], v[128:129]
	s_mov_b32 s20, 0xeb564b22
	v_add_f64 v[74:75], v[74:75], v[0:1]
	v_fma_f64 v[0:1], v[2:3], s[16:17], -v[132:133]
	v_add_f64 v[186:187], v[18:19], -v[58:59]
	s_mov_b32 s18, 0x3259b75e
	s_mov_b32 s21, 0xbfefdd0d
	v_add_f64 v[72:73], v[0:1], v[72:73]
	v_add_f64 v[144:145], v[16:17], v[56:57]
	v_add_f64 v[0:1], v[16:17], -v[56:57]
	s_mov_b32 s19, 0x3fb79ee6
	v_mul_f64 v[134:135], v[186:187], s[20:21]
	s_mov_b32 s40, 0x923c349f
	v_add_f64 v[166:167], v[18:19], v[58:59]
	v_mul_f64 v[140:141], v[0:1], s[20:21]
	v_fma_f64 v[76:77], s[18:19], v[144:145], v[134:135]
	v_add_f64 v[196:197], v[30:31], -v[54:55]
	s_mov_b32 s22, 0xc61f0d01
	s_mov_b32 s41, 0xbfeec746
	v_add_f64 v[74:75], v[76:77], v[74:75]
	v_fma_f64 v[76:77], v[166:167], s[18:19], -v[140:141]
	v_add_f64 v[156:157], v[52:53], v[28:29]
	v_add_f64 v[170:171], v[28:29], -v[52:53]
	s_mov_b32 s23, 0xbfd183b1
	v_mul_f64 v[142:143], v[196:197], s[40:41]
	s_mov_b32 s28, 0x6c9a05f6
	v_add_f64 v[72:73], v[76:77], v[72:73]
	v_add_f64 v[172:173], v[54:55], v[30:31]
	v_mul_f64 v[152:153], v[170:171], s[40:41]
	v_fma_f64 v[76:77], s[22:23], v[156:157], v[142:143]
	v_add_f64 v[200:201], v[34:35], -v[46:47]
	s_mov_b32 s24, 0x6ed5f1bb
	s_mov_b32 s29, 0xbfe9895b
	v_add_f64 v[74:75], v[76:77], v[74:75]
	v_fma_f64 v[76:77], v[172:173], s[22:23], -v[152:153]
	v_add_f64 v[168:169], v[44:45], v[32:33]
	v_add_f64 v[184:185], v[32:33], -v[44:45]
	s_mov_b32 s25, 0xbfe348c8
	v_mul_f64 v[154:155], v[200:201], s[28:29]
	s_mov_b32 s42, 0x4363dd80
	v_add_f64 v[72:73], v[76:77], v[72:73]
	;; [unrolled: 14-line block ×3, first 2 shown]
	v_add_f64 v[190:191], v[26:27], v[50:51]
	v_mul_f64 v[176:177], v[194:195], s[42:43]
	v_fma_f64 v[76:77], s[30:31], v[180:181], v[164:165]
	v_add_f64 v[206:207], v[38:39], -v[42:43]
	s_mov_b32 s34, 0x7faef3
	s_mov_b32 s39, 0xbfc7851a
	v_add_f64 v[74:75], v[76:77], v[74:75]
	v_fma_f64 v[76:77], v[190:191], s[30:31], -v[176:177]
	v_add_f64 v[188:189], v[36:37], v[40:41]
	s_mov_b32 s35, 0xbfef7484
	v_mul_f64 v[178:179], v[206:207], s[38:39]
	v_add_f64 v[202:203], v[36:37], -v[40:41]
	v_add_f64 v[72:73], v[76:77], v[72:73]
	v_fma_f64 v[76:77], s[34:35], v[188:189], v[178:179]
	v_add_f64 v[198:199], v[38:39], v[42:43]
	v_mul_f64 v[192:193], v[202:203], s[38:39]
	v_add_f64 v[248:249], v[76:77], v[74:75]
	v_fma_f64 v[74:75], v[198:199], s[34:35], -v[192:193]
	v_add_f64 v[250:251], v[74:75], v[72:73]
	s_barrier
	s_and_saveexec_b64 s[0:1], vcc
	s_cbranch_execz .LBB0_7
; %bb.6:
	v_mul_f64 v[100:101], v[162:163], s[34:35]
	s_mov_b32 s55, 0x3fc7851a
	s_mov_b32 s54, s38
	v_mul_f64 v[96:97], v[150:151], s[6:7]
	v_fma_f64 v[102:103], s[54:55], v[126:127], v[100:101]
	s_mov_b32 s51, 0x3fd71e95
	s_mov_b32 s50, s26
	v_mul_f64 v[210:211], v[148:149], s[38:39]
	v_mul_f64 v[92:93], v[2:3], s[30:31]
	s_mov_b32 s47, 0x3fe0d888
	s_mov_b32 s46, s42
	v_fma_f64 v[98:99], s[26:27], v[136:137], v[96:97]
	v_add_f64 v[102:103], v[6:7], v[102:103]
	v_mul_f64 v[114:115], v[158:159], s[50:51]
	v_fma_f64 v[212:213], s[34:35], v[122:123], v[210:211]
	v_mul_f64 v[88:89], v[166:167], s[12:13]
	v_fma_f64 v[94:95], s[46:47], v[146:147], v[92:93]
	v_add_f64 v[98:99], v[98:99], v[102:103]
	s_mov_b32 s59, 0x3fe58eea
	s_mov_b32 s58, s14
	v_mul_f64 v[110:111], v[174:175], s[42:43]
	v_fma_f64 v[208:209], s[6:7], v[130:131], v[114:115]
	v_add_f64 v[212:213], v[4:5], v[212:213]
	v_mul_f64 v[84:85], v[172:173], s[24:25]
	s_mov_b32 s53, 0x3fe9895b
	s_mov_b32 s52, s28
	v_fma_f64 v[90:91], s[14:15], v[0:1], v[88:89]
	v_add_f64 v[94:95], v[94:95], v[98:99]
	v_mul_f64 v[106:107], v[186:187], s[58:59]
	v_fma_f64 v[112:113], s[30:31], v[138:139], v[110:111]
	v_add_f64 v[208:209], v[208:209], v[212:213]
	v_mul_f64 v[80:81], v[182:183], s[16:17]
	v_fma_f64 v[86:87], s[52:53], v[170:171], v[84:85]
	v_add_f64 v[90:91], v[90:91], v[94:95]
	s_mov_b32 s49, 0x3feca52d
	s_mov_b32 s48, s36
	v_mul_f64 v[102:103], v[196:197], s[28:29]
	v_fma_f64 v[108:109], s[12:13], v[144:145], v[106:107]
	v_add_f64 v[112:113], v[112:113], v[208:209]
	v_mul_f64 v[78:79], v[190:191], s[22:23]
	s_mov_b32 s45, 0x3feec746
	s_mov_b32 s44, s40
	v_fma_f64 v[82:83], s[36:37], v[184:185], v[80:81]
	v_add_f64 v[86:87], v[86:87], v[90:91]
	v_mul_f64 v[94:95], v[200:201], s[48:49]
	v_fma_f64 v[104:105], s[24:25], v[156:157], v[102:103]
	v_add_f64 v[108:109], v[108:109], v[112:113]
	v_mul_f64 v[76:77], v[198:199], s[18:19]
	v_fma_f64 v[74:75], s[44:45], v[194:195], v[78:79]
	v_add_f64 v[82:83], v[82:83], v[86:87]
	s_mov_b32 s57, 0x3fefdd0d
	s_mov_b32 s56, s20
	v_mul_f64 v[86:87], v[204:205], s[40:41]
	v_fma_f64 v[98:99], s[16:17], v[168:169], v[94:95]
	v_add_f64 v[104:105], v[104:105], v[108:109]
	v_fma_f64 v[72:73], s[20:21], v[202:203], v[76:77]
	v_add_f64 v[74:75], v[74:75], v[82:83]
	v_mul_f64 v[82:83], v[206:207], s[56:57]
	v_fma_f64 v[90:91], s[22:23], v[180:181], v[86:87]
	v_add_f64 v[98:99], v[98:99], v[104:105]
	v_add_f64 v[74:75], v[72:73], v[74:75]
	v_fma_f64 v[72:73], s[18:19], v[188:189], v[82:83]
	v_add_f64 v[90:91], v[90:91], v[98:99]
	v_fmac_f64_e32 v[100:101], s[38:39], v[126:127]
	v_add_f64 v[72:73], v[72:73], v[90:91]
	v_fmac_f64_e32 v[96:97], s[50:51], v[136:137]
	;; [unrolled: 2-line block ×6, first 2 shown]
	v_add_f64 v[84:85], v[84:85], v[88:89]
	v_fma_f64 v[92:93], v[122:123], s[34:35], -v[210:211]
	v_mul_f64 v[108:109], v[162:163], s[30:31]
	v_fmac_f64_e32 v[78:79], s[40:41], v[194:195]
	v_add_f64 v[80:81], v[80:81], v[84:85]
	v_fma_f64 v[88:89], v[138:139], s[30:31], -v[110:111]
	v_fma_f64 v[90:91], v[130:131], s[6:7], -v[114:115]
	v_add_f64 v[92:93], v[4:5], v[92:93]
	v_mul_f64 v[104:105], v[150:151], s[16:17]
	v_fma_f64 v[110:111], s[46:47], v[126:127], v[108:109]
	v_mul_f64 v[218:219], v[148:149], s[42:43]
	v_add_f64 v[78:79], v[78:79], v[80:81]
	v_fma_f64 v[80:81], v[180:181], s[22:23], -v[86:87]
	v_fma_f64 v[86:87], v[144:145], s[12:13], -v[106:107]
	v_add_f64 v[90:91], v[90:91], v[92:93]
	v_mul_f64 v[100:101], v[2:3], s[18:19]
	v_fma_f64 v[106:107], s[36:37], v[136:137], v[104:105]
	v_add_f64 v[110:111], v[6:7], v[110:111]
	v_mul_f64 v[214:215], v[158:159], s[48:49]
	v_fma_f64 v[220:221], s[30:31], v[122:123], v[218:219]
	v_fma_f64 v[84:85], v[156:157], s[24:25], -v[102:103]
	v_add_f64 v[88:89], v[88:89], v[90:91]
	v_mul_f64 v[96:97], v[166:167], s[24:25]
	v_fma_f64 v[102:103], s[56:57], v[146:147], v[100:101]
	v_add_f64 v[106:107], v[106:107], v[110:111]
	v_mul_f64 v[210:211], v[174:175], s[20:21]
	v_fma_f64 v[216:217], s[16:17], v[130:131], v[214:215]
	v_add_f64 v[220:221], v[4:5], v[220:221]
	v_fmac_f64_e32 v[76:77], s[56:57], v[202:203]
	v_add_f64 v[86:87], v[86:87], v[88:89]
	v_mul_f64 v[92:93], v[172:173], s[6:7]
	v_fma_f64 v[98:99], s[28:29], v[0:1], v[96:97]
	v_add_f64 v[102:103], v[102:103], v[106:107]
	v_mul_f64 v[114:115], v[186:187], s[52:53]
	v_fma_f64 v[212:213], s[18:19], v[138:139], v[210:211]
	v_add_f64 v[216:217], v[216:217], v[220:221]
	v_add_f64 v[78:79], v[76:77], v[78:79]
	v_fma_f64 v[76:77], v[188:189], s[18:19], -v[82:83]
	v_fma_f64 v[82:83], v[168:169], s[16:17], -v[94:95]
	v_add_f64 v[84:85], v[84:85], v[86:87]
	v_mul_f64 v[88:89], v[182:183], s[34:35]
	v_fma_f64 v[94:95], s[50:51], v[170:171], v[92:93]
	v_add_f64 v[98:99], v[98:99], v[102:103]
	v_mul_f64 v[110:111], v[196:197], s[26:27]
	v_fma_f64 v[208:209], s[24:25], v[144:145], v[114:115]
	v_add_f64 v[212:213], v[212:213], v[216:217]
	v_add_f64 v[82:83], v[82:83], v[84:85]
	v_mul_f64 v[86:87], v[190:191], s[12:13]
	v_fma_f64 v[90:91], s[54:55], v[184:185], v[88:89]
	v_add_f64 v[94:95], v[94:95], v[98:99]
	v_mul_f64 v[102:103], v[200:201], s[38:39]
	v_fma_f64 v[112:113], s[6:7], v[156:157], v[110:111]
	v_add_f64 v[208:209], v[208:209], v[212:213]
	;; [unrolled: 7-line block ×3, first 2 shown]
	v_add_f64 v[76:77], v[76:77], v[80:81]
	v_fma_f64 v[80:81], s[44:45], v[202:203], v[84:85]
	v_add_f64 v[82:83], v[82:83], v[90:91]
	v_mul_f64 v[90:91], v[206:207], s[40:41]
	v_fma_f64 v[98:99], s[12:13], v[180:181], v[94:95]
	v_add_f64 v[106:107], v[106:107], v[112:113]
	v_add_f64 v[82:83], v[80:81], v[82:83]
	v_fma_f64 v[80:81], s[22:23], v[188:189], v[90:91]
	v_add_f64 v[98:99], v[98:99], v[106:107]
	v_fmac_f64_e32 v[108:109], s[42:43], v[126:127]
	v_add_f64 v[80:81], v[80:81], v[98:99]
	v_fmac_f64_e32 v[104:105], s[48:49], v[136:137]
	;; [unrolled: 2-line block ×6, first 2 shown]
	v_add_f64 v[92:93], v[92:93], v[96:97]
	v_fma_f64 v[100:101], v[122:123], s[30:31], -v[218:219]
	v_mul_f64 v[208:209], v[162:163], s[24:25]
	v_fmac_f64_e32 v[86:87], s[58:59], v[194:195]
	v_add_f64 v[88:89], v[88:89], v[92:93]
	v_fma_f64 v[96:97], v[138:139], s[18:19], -v[210:211]
	v_fma_f64 v[98:99], v[130:131], s[16:17], -v[214:215]
	v_add_f64 v[100:101], v[4:5], v[100:101]
	v_mul_f64 v[112:113], v[150:151], s[22:23]
	v_fma_f64 v[210:211], s[52:53], v[126:127], v[208:209]
	v_mul_f64 v[226:227], v[148:149], s[28:29]
	v_add_f64 v[86:87], v[86:87], v[88:89]
	v_fma_f64 v[88:89], v[180:181], s[12:13], -v[94:95]
	v_fma_f64 v[94:95], v[144:145], s[24:25], -v[114:115]
	v_add_f64 v[98:99], v[98:99], v[100:101]
	v_mul_f64 v[108:109], v[2:3], s[6:7]
	v_fma_f64 v[114:115], s[40:41], v[136:137], v[112:113]
	v_add_f64 v[210:211], v[6:7], v[210:211]
	v_mul_f64 v[222:223], v[158:159], s[44:45]
	v_fma_f64 v[228:229], s[24:25], v[122:123], v[226:227]
	v_fma_f64 v[92:93], v[156:157], s[6:7], -v[110:111]
	v_add_f64 v[96:97], v[96:97], v[98:99]
	v_mul_f64 v[104:105], v[166:167], s[30:31]
	v_fma_f64 v[110:111], s[50:51], v[146:147], v[108:109]
	v_add_f64 v[114:115], v[114:115], v[210:211]
	v_mul_f64 v[218:219], v[174:175], s[26:27]
	v_fma_f64 v[224:225], s[22:23], v[130:131], v[222:223]
	v_add_f64 v[228:229], v[4:5], v[228:229]
	v_fmac_f64_e32 v[84:85], s[40:41], v[202:203]
	v_add_f64 v[94:95], v[94:95], v[96:97]
	v_mul_f64 v[100:101], v[172:173], s[18:19]
	v_fma_f64 v[106:107], s[46:47], v[0:1], v[104:105]
	v_add_f64 v[110:111], v[110:111], v[114:115]
	v_mul_f64 v[214:215], v[186:187], s[42:43]
	v_fma_f64 v[220:221], s[6:7], v[138:139], v[218:219]
	v_add_f64 v[224:225], v[224:225], v[228:229]
	v_add_f64 v[86:87], v[84:85], v[86:87]
	v_fma_f64 v[84:85], v[188:189], s[22:23], -v[90:91]
	v_fma_f64 v[90:91], v[168:169], s[34:35], -v[102:103]
	v_add_f64 v[92:93], v[92:93], v[94:95]
	v_mul_f64 v[96:97], v[182:183], s[12:13]
	v_fma_f64 v[102:103], s[20:21], v[170:171], v[100:101]
	v_add_f64 v[106:107], v[106:107], v[110:111]
	v_mul_f64 v[210:211], v[196:197], s[56:57]
	v_fma_f64 v[216:217], s[30:31], v[144:145], v[214:215]
	v_add_f64 v[220:221], v[220:221], v[224:225]
	v_add_f64 v[90:91], v[90:91], v[92:93]
	v_mul_f64 v[94:95], v[190:191], s[34:35]
	v_fma_f64 v[98:99], s[58:59], v[184:185], v[96:97]
	v_add_f64 v[102:103], v[102:103], v[106:107]
	v_mul_f64 v[110:111], v[200:201], s[14:15]
	v_fma_f64 v[212:213], s[18:19], v[156:157], v[210:211]
	v_add_f64 v[216:217], v[216:217], v[220:221]
	;; [unrolled: 7-line block ×3, first 2 shown]
	v_add_f64 v[84:85], v[84:85], v[88:89]
	v_fma_f64 v[88:89], s[36:37], v[202:203], v[92:93]
	v_add_f64 v[90:91], v[90:91], v[98:99]
	v_mul_f64 v[98:99], v[206:207], s[48:49]
	v_fma_f64 v[106:107], s[34:35], v[180:181], v[102:103]
	v_add_f64 v[114:115], v[114:115], v[212:213]
	v_add_f64 v[90:91], v[88:89], v[90:91]
	v_fma_f64 v[88:89], s[16:17], v[188:189], v[98:99]
	v_add_f64 v[106:107], v[106:107], v[114:115]
	v_fmac_f64_e32 v[208:209], s[28:29], v[126:127]
	v_add_f64 v[88:89], v[88:89], v[106:107]
	v_fmac_f64_e32 v[112:113], s[44:45], v[136:137]
	;; [unrolled: 2-line block ×6, first 2 shown]
	v_add_f64 v[100:101], v[100:101], v[104:105]
	v_fma_f64 v[108:109], v[122:123], s[24:25], -v[226:227]
	v_mul_f64 v[216:217], v[162:163], s[22:23]
	v_fmac_f64_e32 v[94:95], s[38:39], v[194:195]
	v_add_f64 v[96:97], v[96:97], v[100:101]
	v_fma_f64 v[104:105], v[138:139], s[6:7], -v[218:219]
	v_fma_f64 v[106:107], v[130:131], s[22:23], -v[222:223]
	v_add_f64 v[108:109], v[4:5], v[108:109]
	v_mul_f64 v[212:213], v[150:151], s[30:31]
	v_fma_f64 v[218:219], s[44:45], v[126:127], v[216:217]
	v_mul_f64 v[232:233], v[148:149], s[40:41]
	v_add_f64 v[94:95], v[94:95], v[96:97]
	v_fma_f64 v[96:97], v[180:181], s[34:35], -v[102:103]
	v_fma_f64 v[102:103], v[144:145], s[30:31], -v[214:215]
	v_add_f64 v[106:107], v[106:107], v[108:109]
	v_mul_f64 v[208:209], v[2:3], s[12:13]
	v_fma_f64 v[214:215], s[42:43], v[136:137], v[212:213]
	v_add_f64 v[218:219], v[6:7], v[218:219]
	v_mul_f64 v[228:229], v[158:159], s[46:47]
	v_fma_f64 v[234:235], s[22:23], v[122:123], v[232:233]
	v_fma_f64 v[100:101], v[156:157], s[18:19], -v[210:211]
	v_add_f64 v[104:105], v[104:105], v[106:107]
	v_mul_f64 v[112:113], v[166:167], s[16:17]
	v_fma_f64 v[210:211], s[14:15], v[146:147], v[208:209]
	v_add_f64 v[214:215], v[214:215], v[218:219]
	v_mul_f64 v[226:227], v[174:175], s[58:59]
	v_fma_f64 v[230:231], s[30:31], v[130:131], v[228:229]
	v_add_f64 v[234:235], v[4:5], v[234:235]
	v_fmac_f64_e32 v[92:93], s[48:49], v[202:203]
	v_add_f64 v[102:103], v[102:103], v[104:105]
	v_mul_f64 v[108:109], v[172:173], s[34:35]
	v_fma_f64 v[114:115], s[48:49], v[0:1], v[112:113]
	v_add_f64 v[210:211], v[210:211], v[214:215]
	v_mul_f64 v[222:223], v[186:187], s[36:37]
	v_add_f64 v[230:231], v[230:231], v[234:235]
	v_fma_f64 v[234:235], s[12:13], v[138:139], v[226:227]
	v_add_f64 v[94:95], v[92:93], v[94:95]
	v_fma_f64 v[92:93], v[188:189], s[16:17], -v[98:99]
	v_fma_f64 v[98:99], v[168:169], s[12:13], -v[110:111]
	v_add_f64 v[100:101], v[100:101], v[102:103]
	v_mul_f64 v[104:105], v[182:183], s[18:19]
	v_fma_f64 v[110:111], s[54:55], v[170:171], v[108:109]
	v_add_f64 v[114:115], v[114:115], v[210:211]
	v_mul_f64 v[218:219], v[196:197], s[38:39]
	v_fma_f64 v[224:225], s[16:17], v[144:145], v[222:223]
	v_add_f64 v[230:231], v[234:235], v[230:231]
	v_add_f64 v[98:99], v[98:99], v[100:101]
	v_mul_f64 v[102:103], v[190:191], s[6:7]
	v_fma_f64 v[106:107], s[20:21], v[184:185], v[104:105]
	v_add_f64 v[110:111], v[110:111], v[114:115]
	v_mul_f64 v[210:211], v[200:201], s[56:57]
	v_fma_f64 v[220:221], s[34:35], v[156:157], v[218:219]
	v_add_f64 v[224:225], v[224:225], v[230:231]
	;; [unrolled: 7-line block ×3, first 2 shown]
	v_add_f64 v[92:93], v[92:93], v[96:97]
	v_fma_f64 v[96:97], s[52:53], v[202:203], v[100:101]
	v_add_f64 v[98:99], v[98:99], v[106:107]
	v_mul_f64 v[106:107], v[206:207], s[28:29]
	v_fma_f64 v[114:115], s[6:7], v[180:181], v[110:111]
	v_add_f64 v[214:215], v[214:215], v[220:221]
	v_add_f64 v[98:99], v[96:97], v[98:99]
	v_fma_f64 v[96:97], s[24:25], v[188:189], v[106:107]
	v_add_f64 v[114:115], v[114:115], v[214:215]
	v_fmac_f64_e32 v[216:217], s[40:41], v[126:127]
	v_add_f64 v[96:97], v[96:97], v[114:115]
	v_fmac_f64_e32 v[212:213], s[46:47], v[136:137]
	;; [unrolled: 2-line block ×6, first 2 shown]
	v_add_f64 v[108:109], v[108:109], v[112:113]
	v_fma_f64 v[208:209], v[122:123], s[22:23], -v[232:233]
	v_mul_f64 v[224:225], v[162:163], s[18:19]
	v_fmac_f64_e32 v[102:103], s[26:27], v[194:195]
	v_add_f64 v[104:105], v[104:105], v[108:109]
	v_fma_f64 v[112:113], v[138:139], s[12:13], -v[226:227]
	v_fma_f64 v[114:115], v[130:131], s[30:31], -v[228:229]
	v_add_f64 v[208:209], v[4:5], v[208:209]
	v_mul_f64 v[220:221], v[150:151], s[34:35]
	v_fma_f64 v[226:227], s[56:57], v[126:127], v[224:225]
	v_mul_f64 v[232:233], v[148:149], s[20:21]
	v_fmac_f64_e32 v[224:225], s[20:21], v[126:127]
	v_add_f64 v[102:103], v[102:103], v[104:105]
	v_fma_f64 v[104:105], v[180:181], s[6:7], -v[110:111]
	v_fma_f64 v[110:111], v[144:145], s[16:17], -v[222:223]
	v_add_f64 v[114:115], v[114:115], v[208:209]
	v_mul_f64 v[216:217], v[2:3], s[22:23]
	v_fma_f64 v[222:223], s[54:55], v[136:137], v[220:221]
	v_add_f64 v[226:227], v[6:7], v[226:227]
	v_mul_f64 v[228:229], v[158:159], s[38:39]
	v_fma_f64 v[234:235], s[18:19], v[122:123], v[232:233]
	v_fmac_f64_e32 v[220:221], s[38:39], v[136:137]
	v_add_f64 v[224:225], v[6:7], v[224:225]
	v_fma_f64 v[108:109], v[156:157], s[34:35], -v[218:219]
	v_add_f64 v[112:113], v[112:113], v[114:115]
	v_mul_f64 v[212:213], v[166:167], s[6:7]
	v_fma_f64 v[218:219], s[40:41], v[146:147], v[216:217]
	v_add_f64 v[222:223], v[222:223], v[226:227]
	v_mul_f64 v[226:227], v[174:175], s[44:45]
	v_fma_f64 v[230:231], s[34:35], v[130:131], v[228:229]
	v_add_f64 v[234:235], v[4:5], v[234:235]
	v_fmac_f64_e32 v[216:217], s[44:45], v[146:147]
	v_add_f64 v[220:221], v[220:221], v[224:225]
	v_fmac_f64_e32 v[100:101], s[28:29], v[202:203]
	v_add_f64 v[110:111], v[110:111], v[112:113]
	v_mul_f64 v[208:209], v[172:173], s[16:17]
	v_fma_f64 v[214:215], s[26:27], v[0:1], v[212:213]
	v_add_f64 v[218:219], v[218:219], v[222:223]
	v_mul_f64 v[222:223], v[186:187], s[50:51]
	v_add_f64 v[230:231], v[230:231], v[234:235]
	v_fma_f64 v[234:235], s[22:23], v[138:139], v[226:227]
	v_fmac_f64_e32 v[212:213], s[50:51], v[0:1]
	v_add_f64 v[216:217], v[216:217], v[220:221]
	v_add_f64 v[102:103], v[100:101], v[102:103]
	v_fma_f64 v[100:101], v[188:189], s[24:25], -v[106:107]
	v_fma_f64 v[106:107], v[168:169], s[18:19], -v[210:211]
	v_add_f64 v[108:109], v[108:109], v[110:111]
	v_mul_f64 v[112:113], v[182:183], s[30:31]
	v_fma_f64 v[210:211], s[48:49], v[170:171], v[208:209]
	v_add_f64 v[214:215], v[214:215], v[218:219]
	v_mul_f64 v[218:219], v[196:197], s[36:37]
	v_add_f64 v[230:231], v[234:235], v[230:231]
	v_fma_f64 v[234:235], s[6:7], v[144:145], v[222:223]
	v_fmac_f64_e32 v[208:209], s[36:37], v[170:171]
	v_add_f64 v[212:213], v[212:213], v[216:217]
	v_add_f64 v[106:107], v[106:107], v[108:109]
	v_mul_f64 v[110:111], v[190:191], s[24:25]
	v_fma_f64 v[114:115], s[46:47], v[184:185], v[112:113]
	v_add_f64 v[210:211], v[210:211], v[214:215]
	v_mul_f64 v[214:215], v[200:201], s[42:43]
	v_add_f64 v[230:231], v[234:235], v[230:231]
	v_fma_f64 v[234:235], s[16:17], v[156:157], v[218:219]
	v_fmac_f64_e32 v[112:113], s[42:43], v[184:185]
	v_add_f64 v[208:209], v[208:209], v[212:213]
	;; [unrolled: 9-line block ×3, first 2 shown]
	v_add_f64 v[100:101], v[100:101], v[104:105]
	v_fma_f64 v[104:105], s[14:15], v[202:203], v[108:109]
	v_add_f64 v[106:107], v[106:107], v[114:115]
	v_mul_f64 v[114:115], v[206:207], s[58:59]
	v_add_f64 v[230:231], v[234:235], v[230:231]
	v_fma_f64 v[234:235], s[24:25], v[180:181], v[210:211]
	v_fmac_f64_e32 v[108:109], s[58:59], v[202:203]
	v_add_f64 v[110:111], v[110:111], v[112:113]
	v_fma_f64 v[216:217], v[122:123], s[18:19], -v[232:233]
	v_add_f64 v[106:107], v[104:105], v[106:107]
	v_fma_f64 v[104:105], s[12:13], v[188:189], v[114:115]
	v_add_f64 v[230:231], v[234:235], v[230:231]
	v_add_f64 v[110:111], v[108:109], v[110:111]
	v_fma_f64 v[108:109], v[188:189], s[12:13], -v[114:115]
	v_fma_f64 v[114:115], v[168:169], s[30:31], -v[214:215]
	v_fma_f64 v[214:215], v[130:131], s[34:35], -v[228:229]
	v_add_f64 v[216:217], v[4:5], v[216:217]
	v_mul_f64 v[228:229], v[162:163], s[16:17]
	v_add_f64 v[104:105], v[104:105], v[230:231]
	v_fma_f64 v[212:213], v[138:139], s[22:23], -v[226:227]
	v_add_f64 v[214:215], v[214:215], v[216:217]
	v_mul_f64 v[224:225], v[150:151], s[24:25]
	v_fma_f64 v[230:231], s[48:49], v[126:127], v[228:229]
	v_fma_f64 v[112:113], v[180:181], s[24:25], -v[210:211]
	v_fma_f64 v[210:211], v[144:145], s[6:7], -v[222:223]
	v_add_f64 v[212:213], v[212:213], v[214:215]
	v_mul_f64 v[220:221], v[2:3], s[34:35]
	v_fma_f64 v[226:227], s[52:53], v[136:137], v[224:225]
	v_add_f64 v[230:231], v[6:7], v[230:231]
	v_fma_f64 v[208:209], v[156:157], s[16:17], -v[218:219]
	v_add_f64 v[210:211], v[210:211], v[212:213]
	v_mul_f64 v[216:217], v[166:167], s[22:23]
	v_fma_f64 v[222:223], s[38:39], v[146:147], v[220:221]
	v_add_f64 v[226:227], v[226:227], v[230:231]
	v_add_f64 v[208:209], v[208:209], v[210:211]
	v_mul_f64 v[212:213], v[172:173], s[12:13]
	v_fma_f64 v[218:219], s[40:41], v[0:1], v[216:217]
	v_add_f64 v[222:223], v[222:223], v[226:227]
	;; [unrolled: 4-line block ×4, first 2 shown]
	v_mul_f64 v[234:235], v[148:149], s[36:37]
	v_add_f64 v[108:109], v[108:109], v[112:113]
	v_fma_f64 v[112:113], s[56:57], v[194:195], v[208:209]
	v_add_f64 v[114:115], v[114:115], v[214:215]
	v_mul_f64 v[232:233], v[158:159], s[28:29]
	v_fma_f64 v[236:237], s[16:17], v[122:123], v[234:235]
	v_add_f64 v[112:113], v[112:113], v[114:115]
	v_mul_f64 v[230:231], v[174:175], s[54:55]
	;; [unrolled: 3-line block ×3, first 2 shown]
	v_add_f64 v[114:115], v[114:115], v[236:237]
	v_fma_f64 v[236:237], s[34:35], v[138:139], v[230:231]
	v_mul_f64 v[222:223], v[196:197], s[58:59]
	v_add_f64 v[114:115], v[236:237], v[114:115]
	v_fma_f64 v[236:237], s[22:23], v[144:145], v[226:227]
	v_fmac_f64_e32 v[228:229], s[36:37], v[126:127]
	v_mul_f64 v[218:219], v[200:201], s[26:27]
	v_add_f64 v[114:115], v[236:237], v[114:115]
	v_fma_f64 v[236:237], s[12:13], v[156:157], v[222:223]
	v_fmac_f64_e32 v[224:225], s[28:29], v[136:137]
	v_add_f64 v[228:229], v[6:7], v[228:229]
	v_mul_f64 v[214:215], v[204:205], s[20:21]
	v_add_f64 v[114:115], v[236:237], v[114:115]
	v_fma_f64 v[236:237], s[6:7], v[168:169], v[218:219]
	v_add_f64 v[224:225], v[224:225], v[228:229]
	v_fmac_f64_e32 v[220:221], s[54:55], v[146:147]
	v_add_f64 v[114:115], v[236:237], v[114:115]
	v_fma_f64 v[236:237], s[18:19], v[180:181], v[214:215]
	v_mul_f64 v[238:239], v[198:199], s[30:31]
	v_add_f64 v[220:221], v[220:221], v[224:225]
	v_fmac_f64_e32 v[216:217], s[44:45], v[0:1]
	v_add_f64 v[236:237], v[236:237], v[114:115]
	v_fma_f64 v[114:115], s[46:47], v[202:203], v[238:239]
	v_mul_f64 v[240:241], v[206:207], s[42:43]
	;; [unrolled: 5-line block ×3, first 2 shown]
	v_add_f64 v[212:213], v[212:213], v[216:217]
	v_fmac_f64_e32 v[210:211], s[26:27], v[184:185]
	v_fma_f64 v[228:229], v[122:123], s[16:17], -v[234:235]
	v_mul_f64 v[162:163], v[162:163], s[12:13]
	v_add_f64 v[112:113], v[112:113], v[236:237]
	v_add_f64 v[210:211], v[210:211], v[212:213]
	v_fma_f64 v[212:213], v[180:181], s[18:19], -v[214:215]
	v_fma_f64 v[214:215], v[168:169], s[6:7], -v[218:219]
	;; [unrolled: 1-line block ×4, first 2 shown]
	v_add_f64 v[228:229], v[4:5], v[228:229]
	v_mul_f64 v[232:233], v[150:151], s[18:19]
	v_fma_f64 v[236:237], s[58:59], v[126:127], v[162:163]
	v_fma_f64 v[216:217], v[156:157], s[12:13], -v[222:223]
	v_fma_f64 v[222:223], v[138:139], s[34:35], -v[230:231]
	v_add_f64 v[226:227], v[226:227], v[228:229]
	v_mul_f64 v[230:231], v[2:3], s[24:25]
	v_fma_f64 v[234:235], s[56:57], v[136:137], v[232:233]
	v_add_f64 v[236:237], v[6:7], v[236:237]
	v_add_f64 v[222:223], v[222:223], v[226:227]
	v_mul_f64 v[228:229], v[166:167], s[34:35]
	v_add_f64 v[234:235], v[234:235], v[236:237]
	v_fma_f64 v[236:237], s[52:53], v[146:147], v[230:231]
	v_add_f64 v[218:219], v[218:219], v[222:223]
	v_mul_f64 v[226:227], v[172:173], s[30:31]
	v_add_f64 v[234:235], v[236:237], v[234:235]
	v_fma_f64 v[236:237], s[54:55], v[0:1], v[228:229]
	v_fmac_f64_e32 v[208:209], s[20:21], v[194:195]
	v_add_f64 v[216:217], v[216:217], v[218:219]
	v_mul_f64 v[222:223], v[182:183], s[22:23]
	v_add_f64 v[234:235], v[236:237], v[234:235]
	v_fma_f64 v[236:237], s[42:43], v[170:171], v[226:227]
	v_add_f64 v[208:209], v[208:209], v[210:211]
	v_fmac_f64_e32 v[238:239], s[42:43], v[202:203]
	v_add_f64 v[214:215], v[214:215], v[216:217]
	v_mul_f64 v[218:219], v[190:191], s[16:17]
	v_add_f64 v[234:235], v[236:237], v[234:235]
	v_fma_f64 v[236:237], s[40:41], v[184:185], v[222:223]
	v_add_f64 v[210:211], v[238:239], v[208:209]
	v_fma_f64 v[208:209], v[188:189], s[30:31], -v[240:241]
	v_add_f64 v[212:213], v[212:213], v[214:215]
	v_mul_f64 v[216:217], v[198:199], s[6:7]
	v_fma_f64 v[214:215], s[36:37], v[194:195], v[218:219]
	v_add_f64 v[234:235], v[236:237], v[234:235]
	v_mul_f64 v[148:149], v[148:149], s[14:15]
	v_add_f64 v[208:209], v[208:209], v[212:213]
	v_fma_f64 v[212:213], s[26:27], v[202:203], v[216:217]
	v_add_f64 v[214:215], v[214:215], v[234:235]
	v_mul_f64 v[158:159], v[158:159], s[20:21]
	v_fma_f64 v[234:235], s[12:13], v[122:123], v[148:149]
	v_mul_f64 v[224:225], v[122:123], s[6:7]
	v_add_f64 v[214:215], v[212:213], v[214:215]
	v_mul_f64 v[174:175], v[174:175], s[28:29]
	v_fma_f64 v[212:213], s[18:19], v[130:131], v[158:159]
	v_add_f64 v[234:235], v[4:5], v[234:235]
	v_mul_f64 v[186:187], v[186:187], s[38:39]
	v_add_f64 v[212:213], v[212:213], v[234:235]
	v_fma_f64 v[234:235], s[24:25], v[138:139], v[174:175]
	v_fmac_f64_e32 v[162:163], s[14:15], v[126:127]
	v_fma_f64 v[122:123], v[122:123], s[12:13], -v[148:149]
	v_add_f64 v[118:119], v[118:119], v[220:221]
	v_add_f64 v[116:117], v[224:225], -v[116:117]
	v_mul_f64 v[196:197], v[196:197], s[46:47]
	v_add_f64 v[212:213], v[234:235], v[212:213]
	v_fma_f64 v[234:235], s[34:35], v[144:145], v[186:187]
	v_fmac_f64_e32 v[228:229], s[38:39], v[0:1]
	v_add_f64 v[0:1], v[6:7], v[162:163]
	v_add_f64 v[122:123], v[4:5], v[122:123]
	;; [unrolled: 1-line block ×6, first 2 shown]
	v_mul_f64 v[200:201], v[200:201], s[44:45]
	v_add_f64 v[212:213], v[234:235], v[212:213]
	v_fma_f64 v[234:235], s[30:31], v[156:157], v[196:197]
	v_add_f64 v[6:7], v[22:23], v[6:7]
	v_add_f64 v[4:5], v[20:21], v[4:5]
	v_mul_f64 v[204:205], v[204:205], s[48:49]
	v_add_f64 v[212:213], v[234:235], v[212:213]
	v_fma_f64 v[234:235], s[22:23], v[168:169], v[200:201]
	v_add_f64 v[6:7], v[10:11], v[6:7]
	v_add_f64 v[4:5], v[8:9], v[4:5]
	;; [unrolled: 5-line block ×3, first 2 shown]
	v_add_f64 v[212:213], v[234:235], v[212:213]
	v_fma_f64 v[234:235], s[6:7], v[188:189], v[206:207]
	v_add_f64 v[6:7], v[30:31], v[6:7]
	v_add_f64 v[4:5], v[28:29], v[4:5]
	;; [unrolled: 1-line block ×3, first 2 shown]
	v_mul_f64 v[234:235], v[130:131], s[12:13]
	v_fma_f64 v[130:131], v[130:131], s[18:19], -v[158:159]
	v_add_f64 v[6:7], v[34:35], v[6:7]
	v_add_f64 v[4:5], v[32:33], v[4:5]
	v_mul_f64 v[150:151], v[150:151], s[12:13]
	v_mul_f64 v[236:237], v[138:139], s[16:17]
	v_fmac_f64_e32 v[232:233], s[20:21], v[136:137]
	v_fma_f64 v[138:139], v[138:139], s[24:25], -v[174:175]
	v_add_f64 v[122:123], v[130:131], v[122:123]
	v_add_f64 v[6:7], v[26:27], v[6:7]
	v_add_f64 v[4:5], v[24:25], v[4:5]
	v_mul_f64 v[238:239], v[2:3], s[16:17]
	v_fmac_f64_e32 v[216:217], s[50:51], v[202:203]
	v_mul_f64 v[202:203], v[144:145], s[18:19]
	v_fmac_f64_e32 v[230:231], s[28:29], v[146:147]
	v_add_f64 v[0:1], v[232:233], v[0:1]
	v_fma_f64 v[144:145], v[144:145], s[34:35], -v[186:187]
	v_add_f64 v[122:123], v[138:139], v[122:123]
	v_add_f64 v[124:125], v[124:125], v[150:151]
	;; [unrolled: 1-line block ×4, first 2 shown]
	v_mul_f64 v[166:167], v[166:167], s[18:19]
	v_add_f64 v[0:1], v[230:231], v[0:1]
	v_fma_f64 v[146:147], v[156:157], s[30:31], -v[196:197]
	v_add_f64 v[122:123], v[144:145], v[122:123]
	v_add_f64 v[132:133], v[132:133], v[238:239]
	;; [unrolled: 1-line block ×5, first 2 shown]
	v_mul_f64 v[172:173], v[172:173], s[22:23]
	v_fmac_f64_e32 v[226:227], s[46:47], v[170:171]
	v_add_f64 v[0:1], v[228:229], v[0:1]
	v_fma_f64 v[136:137], v[168:169], s[22:23], -v[200:201]
	v_add_f64 v[122:123], v[146:147], v[122:123]
	v_add_f64 v[138:139], v[140:141], v[166:167]
	v_add_f64 v[118:119], v[132:133], v[118:119]
	v_add_f64 v[120:121], v[234:235], -v[120:121]
	v_add_f64 v[6:7], v[50:51], v[6:7]
	v_add_f64 v[4:5], v[48:49], v[4:5]
	v_fmac_f64_e32 v[222:223], s[44:45], v[184:185]
	v_mul_f64 v[182:183], v[182:183], s[24:25]
	v_add_f64 v[0:1], v[226:227], v[0:1]
	v_add_f64 v[122:123], v[136:137], v[122:123]
	;; [unrolled: 1-line block ×4, first 2 shown]
	v_add_f64 v[128:129], v[236:237], -v[128:129]
	v_add_f64 v[116:117], v[120:121], v[116:117]
	v_add_f64 v[6:7], v[46:47], v[6:7]
	;; [unrolled: 1-line block ×3, first 2 shown]
	v_fmac_f64_e32 v[218:219], s[48:49], v[194:195]
	v_mul_f64 v[194:195], v[156:157], s[22:23]
	v_mul_f64 v[190:191], v[190:191], s[30:31]
	v_add_f64 v[0:1], v[222:223], v[0:1]
	v_fma_f64 v[126:127], v[180:181], s[16:17], -v[204:205]
	v_add_f64 v[130:131], v[160:161], v[182:183]
	v_add_f64 v[118:119], v[136:137], v[118:119]
	v_add_f64 v[132:133], v[202:203], -v[134:135]
	v_add_f64 v[116:117], v[128:129], v[116:117]
	v_add_f64 v[6:7], v[54:55], v[6:7]
	;; [unrolled: 1-line block ×3, first 2 shown]
	v_mul_f64 v[184:185], v[168:169], s[24:25]
	v_add_f64 v[0:1], v[218:219], v[0:1]
	v_add_f64 v[122:123], v[126:127], v[122:123]
	;; [unrolled: 1-line block ×4, first 2 shown]
	v_add_f64 v[130:131], v[194:195], -v[142:143]
	v_add_f64 v[116:117], v[132:133], v[116:117]
	v_add_f64 v[6:7], v[58:59], v[6:7]
	;; [unrolled: 1-line block ×3, first 2 shown]
	v_mul_f64 v[170:171], v[180:181], s[30:31]
	v_mul_f64 v[198:199], v[198:199], s[34:35]
	v_add_f64 v[2:3], v[216:217], v[0:1]
	v_fma_f64 v[0:1], v[188:189], s[6:7], -v[206:207]
	v_add_f64 v[118:119], v[126:127], v[118:119]
	v_add_f64 v[126:127], v[184:185], -v[154:155]
	v_add_f64 v[116:117], v[130:131], v[116:117]
	v_add_f64 v[6:7], v[62:63], v[6:7]
	;; [unrolled: 1-line block ×3, first 2 shown]
	v_mul_f64 v[240:241], v[188:189], s[34:35]
	v_add_f64 v[0:1], v[0:1], v[122:123]
	v_add_f64 v[122:123], v[192:193], v[198:199]
	v_add_f64 v[124:125], v[170:171], -v[164:165]
	v_add_f64 v[116:117], v[126:127], v[116:117]
	v_add_f64 v[6:7], v[66:67], v[6:7]
	;; [unrolled: 1-line block ×3, first 2 shown]
	v_mul_lo_u16_e32 v8, 17, v252
	v_add_f64 v[118:119], v[122:123], v[118:119]
	v_add_f64 v[122:123], v[240:241], -v[178:179]
	v_add_f64 v[116:117], v[124:125], v[116:117]
	v_add_f64 v[6:7], v[70:71], v[6:7]
	;; [unrolled: 1-line block ×3, first 2 shown]
	v_add_lshl_u32 v8, v244, v8, 4
	v_add_f64 v[116:117], v[122:123], v[116:117]
	ds_write_b128 v8, v[4:7]
	ds_write_b128 v8, v[116:119] offset:16
	ds_write_b128 v8, v[0:3] offset:32
	;; [unrolled: 1-line block ×16, first 2 shown]
.LBB0_7:
	s_or_b64 exec, exec, s[0:1]
	s_movk_i32 s12, 0xf1
	v_mul_lo_u16_sdwa v0, v252, s12 dst_sel:DWORD dst_unused:UNUSED_PAD src0_sel:BYTE_0 src1_sel:DWORD
	v_add_u16_e32 v2, 0x44, v252
	v_lshrrev_b16_e32 v3, 12, v0
	v_mul_lo_u16_sdwa v4, v2, s12 dst_sel:DWORD dst_unused:UNUSED_PAD src0_sel:BYTE_0 src1_sel:DWORD
	v_mul_lo_u16_e32 v0, 17, v3
	v_lshrrev_b16_e32 v48, 12, v4
	v_sub_u16_e32 v0, v252, v0
	v_mul_lo_u16_e32 v4, 17, v48
	v_and_b32_e32 v41, 0xff, v0
	v_sub_u16_e32 v2, v2, v4
	v_mad_u64_u32 v[0:1], s[0:1], v41, 48, s[10:11]
	v_and_b32_e32 v49, 0xff, v2
	s_load_dwordx4 s[4:7], s[4:5], 0x0
	s_waitcnt lgkmcnt(0)
	s_barrier
	global_load_dwordx4 v[210:213], v[0:1], off offset:16
	global_load_dwordx4 v[214:217], v[0:1], off
	global_load_dwordx4 v[222:225], v[0:1], off offset:32
	v_mad_u64_u32 v[0:1], s[0:1], v49, 48, s[10:11]
	global_load_dwordx4 v[230:233], v[0:1], off
	global_load_dwordx4 v[226:229], v[0:1], off offset:16
	global_load_dwordx4 v[218:221], v[0:1], off offset:32
	v_add_u16_e32 v1, 0x88, v252
	v_mul_lo_u16_sdwa v0, v1, s12 dst_sel:DWORD dst_unused:UNUSED_PAD src0_sel:BYTE_0 src1_sel:DWORD
	v_lshrrev_b16_e32 v50, 12, v0
	v_mul_lo_u16_e32 v0, 17, v50
	v_sub_u16_e32 v0, v1, v0
	v_and_b32_e32 v51, 0xff, v0
	v_mad_u64_u32 v[4:5], s[0:1], v51, 48, s[10:11]
	v_add_u32_e32 v0, 0xcc, v252
	s_mov_b32 s0, 0xf0f1
	v_mul_u32_u24_sdwa v2, v0, s0 dst_sel:DWORD dst_unused:UNUSED_PAD src0_sel:WORD_0 src1_sel:DWORD
	v_lshrrev_b32_e32 v96, 20, v2
	global_load_dwordx4 v[238:241], v[4:5], off
	global_load_dwordx4 v[234:237], v[4:5], off offset:16
	v_mul_lo_u16_e32 v6, 17, v96
	v_sub_u16_e32 v97, v0, v6
	global_load_dwordx4 v[98:101], v[4:5], off offset:32
	v_mul_lo_u16_e32 v208, 48, v97
	v_mov_b32_e32 v209, 0
	v_lshl_add_u64 v[4:5], s[10:11], 0, v[208:209]
	global_load_dwordx4 v[110:113], v[4:5], off
	global_load_dwordx4 v[106:109], v[4:5], off offset:16
	global_load_dwordx4 v[102:105], v[4:5], off offset:32
	v_add_lshl_u32 v40, v244, v252, 4
	ds_read_b128 v[4:7], v40
	ds_read_b128 v[8:11], v40 offset:1088
	ds_read_b128 v[12:15], v40 offset:4352
	;; [unrolled: 1-line block ×15, first 2 shown]
	v_mul_u32_u24_e32 v3, 0x44, v3
	v_add_u32_e32 v3, v3, v41
	s_movk_i32 s0, 0x44
	s_waitcnt lgkmcnt(0)
	s_barrier
	s_waitcnt vmcnt(11)
	v_mul_f64 v[46:47], v[22:23], v[212:213]
	s_waitcnt vmcnt(10)
	v_mul_f64 v[44:45], v[12:13], v[216:217]
	;; [unrolled: 2-line block ×4, first 2 shown]
	v_mul_f64 v[42:43], v[14:15], v[216:217]
	v_mul_f64 v[80:81], v[20:21], v[212:213]
	v_mul_f64 v[84:85], v[28:29], v[224:225]
	v_mul_f64 v[88:89], v[16:17], v[232:233]
	v_fmac_f64_e32 v[44:45], v[14:15], v[214:215]
	v_fma_f64 v[14:15], v[20:21], v[210:211], -v[46:47]
	v_fma_f64 v[20:21], v[28:29], v[222:223], -v[82:83]
	;; [unrolled: 1-line block ×4, first 2 shown]
	s_waitcnt vmcnt(7)
	v_mul_f64 v[92:93], v[24:25], v[228:229]
	s_waitcnt vmcnt(6)
	v_mul_f64 v[94:95], v[34:35], v[220:221]
	v_fmac_f64_e32 v[80:81], v[22:23], v[210:211]
	v_fmac_f64_e32 v[84:85], v[30:31], v[222:223]
	s_waitcnt vmcnt(5)
	v_mul_f64 v[16:17], v[58:59], v[240:241]
	v_fma_f64 v[42:43], v[56:57], v[238:239], -v[16:17]
	s_waitcnt vmcnt(4)
	v_mul_f64 v[16:17], v[66:67], v[236:237]
	v_mul_f64 v[46:47], v[56:57], v[240:241]
	v_fma_f64 v[56:57], v[64:65], v[234:235], -v[16:17]
	s_waitcnt vmcnt(3)
	v_mul_f64 v[16:17], v[74:75], v[100:101]
	v_fmac_f64_e32 v[46:47], v[58:59], v[238:239]
	v_mul_f64 v[58:59], v[64:65], v[236:237]
	v_fma_f64 v[64:65], v[72:73], v[98:99], -v[16:17]
	s_waitcnt vmcnt(2)
	v_mul_f64 v[16:17], v[62:63], v[112:113]
	v_fmac_f64_e32 v[58:59], v[66:67], v[234:235]
	v_mul_f64 v[66:67], v[72:73], v[100:101]
	v_fma_f64 v[72:73], v[60:61], v[110:111], -v[16:17]
	s_waitcnt vmcnt(1)
	v_mul_f64 v[16:17], v[70:71], v[108:109]
	v_mul_f64 v[90:91], v[26:27], v[228:229]
	v_fmac_f64_e32 v[88:89], v[18:19], v[230:231]
	v_fmac_f64_e32 v[92:93], v[26:27], v[226:227]
	v_fma_f64 v[26:27], v[32:33], v[218:219], -v[94:95]
	v_mul_f64 v[30:31], v[32:33], v[220:221]
	v_fma_f64 v[82:83], v[68:69], v[106:107], -v[16:17]
	v_mul_f64 v[68:69], v[68:69], v[108:109]
	s_waitcnt vmcnt(0)
	v_mul_f64 v[16:17], v[78:79], v[104:105]
	v_add_f64 v[22:23], v[4:5], -v[14:15]
	v_add_f64 v[32:33], v[6:7], -v[80:81]
	;; [unrolled: 1-line block ×4, first 2 shown]
	v_fmac_f64_e32 v[30:31], v[34:35], v[218:219]
	v_fmac_f64_e32 v[68:69], v[70:71], v[106:107]
	v_fma_f64 v[70:71], v[76:77], v[102:103], -v[16:17]
	v_fma_f64 v[14:15], v[4:5], 2.0, -v[22:23]
	v_fma_f64 v[16:17], v[6:7], 2.0, -v[32:33]
	;; [unrolled: 1-line block ×4, first 2 shown]
	v_add_f64 v[4:5], v[14:15], -v[4:5]
	v_add_f64 v[6:7], v[16:17], -v[6:7]
	;; [unrolled: 1-line block ×4, first 2 shown]
	v_fma_f64 v[24:25], v[24:25], v[226:227], -v[90:91]
	v_fma_f64 v[12:13], v[14:15], 2.0, -v[4:5]
	v_fma_f64 v[14:15], v[16:17], 2.0, -v[6:7]
	v_add_f64 v[16:17], v[22:23], -v[20:21]
	v_add_f64 v[18:19], v[32:33], v[18:19]
	v_fma_f64 v[44:45], v[10:11], 2.0, -v[34:35]
	v_fma_f64 v[10:11], v[88:89], 2.0, -v[30:31]
	v_fmac_f64_e32 v[66:67], v[74:75], v[98:99]
	v_mul_f64 v[74:75], v[60:61], v[112:113]
	v_mul_f64 v[76:77], v[76:77], v[104:105]
	v_fma_f64 v[20:21], v[22:23], 2.0, -v[16:17]
	v_fma_f64 v[22:23], v[32:33], 2.0, -v[18:19]
	v_add_f64 v[32:33], v[8:9], -v[24:25]
	v_add_f64 v[60:61], v[28:29], -v[26:27]
	;; [unrolled: 1-line block ×3, first 2 shown]
	v_fmac_f64_e32 v[76:77], v[78:79], v[102:103]
	v_fma_f64 v[24:25], v[8:9], 2.0, -v[32:33]
	v_fma_f64 v[8:9], v[28:29], 2.0, -v[60:61]
	;; [unrolled: 1-line block ×3, first 2 shown]
	v_add_f64 v[28:29], v[32:33], -v[30:31]
	v_add_f64 v[30:31], v[34:35], v[60:61]
	v_add_f64 v[44:45], v[36:37], -v[56:57]
	v_add_f64 v[78:79], v[38:39], -v[58:59]
	;; [unrolled: 1-line block ×3, first 2 shown]
	v_add_lshl_u32 v86, v244, v3, 4
	v_mul_u32_u24_e32 v3, 0x44, v48
	v_fmac_f64_e32 v[74:75], v[62:63], v[110:111]
	v_fma_f64 v[58:59], v[38:39], 2.0, -v[78:79]
	v_add_f64 v[62:63], v[42:43], -v[64:65]
	v_fma_f64 v[38:39], v[46:47], 2.0, -v[60:61]
	v_add_f64 v[60:61], v[44:45], -v[60:61]
	v_add_u32_e32 v3, v3, v49
	v_fma_f64 v[56:57], v[36:37], 2.0, -v[44:45]
	v_fma_f64 v[36:37], v[42:43], 2.0, -v[62:63]
	v_add_f64 v[62:63], v[78:79], v[62:63]
	v_fma_f64 v[64:65], v[44:45], 2.0, -v[60:61]
	v_add_f64 v[42:43], v[52:53], -v[82:83]
	v_add_f64 v[44:45], v[54:55], -v[68:69]
	;; [unrolled: 1-line block ×4, first 2 shown]
	v_add_lshl_u32 v87, v244, v3, 4
	v_mul_u32_u24_e32 v3, 0x44, v50
	v_fma_f64 v[66:67], v[78:79], 2.0, -v[62:63]
	v_fma_f64 v[46:47], v[52:53], 2.0, -v[42:43]
	;; [unrolled: 1-line block ×5, first 2 shown]
	v_add_u32_e32 v3, v3, v51
	v_add_f64 v[8:9], v[24:25], -v[8:9]
	v_add_f64 v[36:37], v[56:57], -v[36:37]
	;; [unrolled: 1-line block ×5, first 2 shown]
	v_add_lshl_u32 v253, v244, v3, 4
	v_mad_legacy_u16 v3, v96, s0, v97
	v_fma_f64 v[24:25], v[24:25], 2.0, -v[8:9]
	v_fma_f64 v[56:57], v[56:57], 2.0, -v[36:37]
	;; [unrolled: 1-line block ×5, first 2 shown]
	v_add_f64 v[72:73], v[42:43], -v[76:77]
	v_add_f64 v[74:75], v[44:45], v[80:81]
	ds_write_b128 v86, v[12:15]
	ds_write_b128 v86, v[20:23] offset:272
	ds_write_b128 v86, v[4:7] offset:544
	;; [unrolled: 1-line block ×3, first 2 shown]
	v_add_lshl_u32 v254, v244, v3, 4
	v_mad_u64_u32 v[4:5], s[0:1], v252, 48, s[10:11]
	v_fma_f64 v[32:33], v[32:33], 2.0, -v[28:29]
	v_fma_f64 v[34:35], v[34:35], 2.0, -v[30:31]
	;; [unrolled: 1-line block ×4, first 2 shown]
	ds_write_b128 v87, v[24:27]
	ds_write_b128 v87, v[32:35] offset:272
	ds_write_b128 v87, v[8:11] offset:544
	ds_write_b128 v87, v[28:31] offset:816
	ds_write_b128 v253, v[56:59]
	ds_write_b128 v253, v[64:67] offset:272
	ds_write_b128 v253, v[36:39] offset:544
	ds_write_b128 v253, v[60:63] offset:816
	;; [unrolled: 4-line block ×3, first 2 shown]
	s_waitcnt lgkmcnt(0)
	s_barrier
	global_load_dwordx4 v[60:63], v[4:5], off offset:816
	global_load_dwordx4 v[56:59], v[4:5], off offset:832
	;; [unrolled: 1-line block ×3, first 2 shown]
	s_movk_i32 s0, 0x79
	v_mul_lo_u16_sdwa v3, v1, s0 dst_sel:DWORD dst_unused:UNUSED_PAD src0_sel:BYTE_0 src1_sel:DWORD
	v_lshrrev_b16_e32 v3, 13, v3
	v_mul_lo_u16_e32 v3, 0x44, v3
	v_sub_u16_e32 v1, v1, v3
	v_and_b32_e32 v41, 0xff, v1
	v_lshrrev_b32_e32 v1, 22, v2
	v_mad_u64_u32 v[4:5], s[0:1], v41, 48, s[10:11]
	v_mul_lo_u16_e32 v1, 0x44, v1
	global_load_dwordx4 v[72:75], v[4:5], off offset:816
	global_load_dwordx4 v[68:71], v[4:5], off offset:832
	;; [unrolled: 1-line block ×3, first 2 shown]
	v_sub_u16_e32 v48, v0, v1
	v_mul_lo_u16_e32 v208, 48, v48
	v_lshl_add_u64 v[0:1], s[10:11], 0, v[208:209]
	global_load_dwordx4 v[116:119], v[0:1], off offset:816
	global_load_dwordx4 v[80:83], v[0:1], off offset:832
	;; [unrolled: 1-line block ×3, first 2 shown]
	v_accvgpr_write_b32 a40, v98
	v_accvgpr_write_b32 a52, v110
	;; [unrolled: 1-line block ×16, first 2 shown]
	ds_read_b128 v[0:3], v40
	ds_read_b128 v[4:7], v40 offset:1088
	ds_read_b128 v[8:11], v40 offset:4352
	;; [unrolled: 1-line block ×15, first 2 shown]
	s_waitcnt lgkmcnt(0)
	s_barrier
	v_add_lshl_u32 v255, v244, v41, 4
	v_lshlrev_b32_e32 v208, 4, v252
	s_movk_i32 s0, 0x1000
	v_lshl_add_u32 v41, v252, 4, v247
	s_waitcnt vmcnt(8)
	v_mul_f64 v[42:43], v[10:11], v[62:63]
	v_fma_f64 v[42:43], v[8:9], v[60:61], -v[42:43]
	v_mul_f64 v[8:9], v[8:9], v[62:63]
	v_fmac_f64_e32 v[8:9], v[10:11], v[60:61]
	s_waitcnt vmcnt(7)
	v_mul_f64 v[10:11], v[18:19], v[58:59]
	v_fma_f64 v[10:11], v[16:17], v[56:57], -v[10:11]
	v_mul_f64 v[16:17], v[16:17], v[58:59]
	v_fmac_f64_e32 v[16:17], v[18:19], v[56:57]
	;; [unrolled: 5-line block ×3, first 2 shown]
	v_mul_f64 v[26:27], v[14:15], v[62:63]
	v_fma_f64 v[26:27], v[12:13], v[60:61], -v[26:27]
	v_mul_f64 v[44:45], v[12:13], v[62:63]
	v_mul_f64 v[12:13], v[22:23], v[58:59]
	v_fma_f64 v[46:47], v[20:21], v[56:57], -v[12:13]
	v_mul_f64 v[20:21], v[20:21], v[58:59]
	v_mul_f64 v[12:13], v[30:31], v[54:55]
	v_fmac_f64_e32 v[20:21], v[22:23], v[56:57]
	v_fma_f64 v[22:23], v[28:29], v[52:53], -v[12:13]
	s_waitcnt vmcnt(5)
	v_mul_f64 v[12:13], v[90:91], v[74:75]
	v_fma_f64 v[112:113], v[88:89], v[72:73], -v[12:13]
	v_mul_f64 v[88:89], v[88:89], v[74:75]
	s_waitcnt vmcnt(4)
	v_mul_f64 v[12:13], v[98:99], v[70:71]
	v_fmac_f64_e32 v[88:89], v[90:91], v[72:73]
	v_fma_f64 v[90:91], v[96:97], v[68:69], -v[12:13]
	v_mul_f64 v[96:97], v[96:97], v[70:71]
	s_waitcnt vmcnt(3)
	v_mul_f64 v[12:13], v[106:107], v[66:67]
	v_fmac_f64_e32 v[96:97], v[98:99], v[68:69]
	v_fma_f64 v[98:99], v[104:105], v[64:65], -v[12:13]
	v_mul_f64 v[104:105], v[104:105], v[66:67]
	s_waitcnt vmcnt(2)
	v_mul_f64 v[12:13], v[94:95], v[118:119]
	v_mul_f64 v[28:29], v[28:29], v[54:55]
	v_fmac_f64_e32 v[104:105], v[106:107], v[64:65]
	v_fma_f64 v[106:107], v[92:93], v[116:117], -v[12:13]
	v_mul_f64 v[114:115], v[92:93], v[118:119]
	v_accvgpr_write_b32 a80, v116
	s_waitcnt vmcnt(1)
	v_mul_f64 v[12:13], v[102:103], v[82:83]
	v_fmac_f64_e32 v[44:45], v[14:15], v[60:61]
	v_fmac_f64_e32 v[28:29], v[30:31], v[52:53]
	v_accvgpr_write_b32 a81, v117
	v_accvgpr_write_b32 a82, v118
	;; [unrolled: 1-line block ×3, first 2 shown]
	v_fmac_f64_e32 v[114:115], v[94:95], v[116:117]
	v_fma_f64 v[116:117], v[100:101], v[80:81], -v[12:13]
	v_mul_f64 v[100:101], v[100:101], v[82:83]
	s_waitcnt vmcnt(0)
	v_mul_f64 v[12:13], v[110:111], v[78:79]
	v_add_f64 v[30:31], v[0:1], -v[10:11]
	v_add_f64 v[92:93], v[2:3], -v[16:17]
	;; [unrolled: 1-line block ×4, first 2 shown]
	v_fmac_f64_e32 v[100:101], v[102:103], v[80:81]
	v_fma_f64 v[102:103], v[108:109], v[76:77], -v[12:13]
	v_fma_f64 v[10:11], v[0:1], 2.0, -v[30:31]
	v_fma_f64 v[12:13], v[2:3], 2.0, -v[92:93]
	;; [unrolled: 1-line block ×4, first 2 shown]
	v_add_f64 v[0:1], v[10:11], -v[0:1]
	v_add_f64 v[2:3], v[12:13], -v[2:3]
	;; [unrolled: 1-line block ×4, first 2 shown]
	v_fma_f64 v[8:9], v[10:11], 2.0, -v[0:1]
	v_fma_f64 v[10:11], v[12:13], 2.0, -v[2:3]
	v_add_f64 v[12:13], v[30:31], -v[16:17]
	v_fma_f64 v[24:25], v[6:7], 2.0, -v[42:43]
	v_fma_f64 v[6:7], v[44:45], 2.0, -v[28:29]
	;; [unrolled: 1-line block ×3, first 2 shown]
	v_add_f64 v[30:31], v[4:5], -v[46:47]
	v_add_f64 v[46:47], v[26:27], -v[22:23]
	;; [unrolled: 1-line block ×3, first 2 shown]
	v_add_f64 v[14:15], v[92:93], v[14:15]
	v_fma_f64 v[20:21], v[4:5], 2.0, -v[30:31]
	v_fma_f64 v[4:5], v[26:27], 2.0, -v[46:47]
	;; [unrolled: 1-line block ×3, first 2 shown]
	v_add_f64 v[24:25], v[30:31], -v[28:29]
	v_add_f64 v[26:27], v[42:43], v[46:47]
	v_mul_f64 v[108:109], v[108:109], v[78:79]
	v_fma_f64 v[18:19], v[92:93], 2.0, -v[14:15]
	v_fma_f64 v[28:29], v[30:31], 2.0, -v[24:25]
	;; [unrolled: 1-line block ×3, first 2 shown]
	v_add_f64 v[42:43], v[32:33], -v[90:91]
	v_add_f64 v[44:45], v[34:35], -v[96:97]
	;; [unrolled: 1-line block ×4, first 2 shown]
	v_fmac_f64_e32 v[108:109], v[110:111], v[76:77]
	v_fma_f64 v[46:47], v[32:33], 2.0, -v[42:43]
	v_fma_f64 v[90:91], v[34:35], 2.0, -v[44:45]
	;; [unrolled: 1-line block ×4, first 2 shown]
	v_add_f64 v[92:93], v[42:43], -v[92:93]
	v_add_f64 v[94:95], v[44:45], v[94:95]
	v_add_f64 v[32:33], v[46:47], -v[32:33]
	v_fma_f64 v[96:97], v[42:43], 2.0, -v[92:93]
	v_fma_f64 v[98:99], v[44:45], 2.0, -v[94:95]
	v_add_f64 v[42:43], v[36:37], -v[116:117]
	v_add_f64 v[44:45], v[38:39], -v[100:101]
	;; [unrolled: 1-line block ×4, first 2 shown]
	v_fma_f64 v[88:89], v[46:47], 2.0, -v[32:33]
	v_fma_f64 v[46:47], v[36:37], 2.0, -v[42:43]
	;; [unrolled: 1-line block ×5, first 2 shown]
	v_add_f64 v[4:5], v[20:21], -v[4:5]
	v_add_f64 v[34:35], v[90:91], -v[34:35]
	;; [unrolled: 1-line block ×4, first 2 shown]
	v_fma_f64 v[20:21], v[20:21], 2.0, -v[4:5]
	v_fma_f64 v[90:91], v[90:91], 2.0, -v[34:35]
	v_fma_f64 v[100:101], v[46:47], 2.0, -v[36:37]
	v_fma_f64 v[102:103], v[104:105], 2.0, -v[38:39]
	v_add_f64 v[104:105], v[42:43], -v[108:109]
	v_add_f64 v[106:107], v[44:45], v[110:111]
	ds_write_b128 v40, v[8:11]
	ds_write_b128 v40, v[16:19] offset:1088
	ds_write_b128 v40, v[0:3] offset:2176
	;; [unrolled: 1-line block ×7, first 2 shown]
	v_add_lshl_u32 v0, v244, v48, 4
	v_fma_f64 v[108:109], v[42:43], 2.0, -v[104:105]
	v_fma_f64 v[110:111], v[44:45], 2.0, -v[106:107]
	ds_write_b128 v255, v[88:91] offset:8704
	ds_write_b128 v255, v[96:99] offset:9792
	;; [unrolled: 1-line block ×7, first 2 shown]
	v_accvgpr_write_b32 a84, v0
	ds_write_b128 v0, v[104:107] offset:16320
	s_waitcnt lgkmcnt(0)
	s_barrier
	v_lshl_add_u64 v[0:1], s[10:11], 0, v[208:209]
	global_load_dwordx4 v[88:91], v208, s[10:11] offset:4080
	v_add_co_u32_e64 v2, s[0:1], s0, v0
	v_accvgpr_write_b32 a68, v72
	s_nop 0
	v_addc_co_u32_e64 v3, s[0:1], 0, v1, s[0:1]
	global_load_dwordx4 v[92:95], v[2:3], off offset:1072
	global_load_dwordx4 v[96:99], v[2:3], off offset:2160
	;; [unrolled: 1-line block ×3, first 2 shown]
	ds_read_b128 v[2:5], v40
	ds_read_b128 v[6:9], v40 offset:1088
	ds_read_b128 v[10:13], v40 offset:8704
	;; [unrolled: 1-line block ×15, first 2 shown]
	s_movk_i32 s0, 0x2000
	s_waitcnt lgkmcnt(0)
	s_barrier
	v_accvgpr_write_b32 a64, v68
	v_accvgpr_write_b32 a60, v64
	;; [unrolled: 1-line block ×19, first 2 shown]
	s_waitcnt vmcnt(3)
	v_mul_f64 v[38:39], v[12:13], v[90:91]
	v_fma_f64 v[38:39], v[10:11], v[88:89], -v[38:39]
	v_mul_f64 v[42:43], v[10:11], v[90:91]
	v_fmac_f64_e32 v[42:43], v[12:13], v[88:89]
	s_waitcnt vmcnt(2)
	v_mul_f64 v[10:11], v[16:17], v[94:95]
	v_fma_f64 v[44:45], v[14:15], v[92:93], -v[10:11]
	s_waitcnt vmcnt(1)
	v_mul_f64 v[10:11], v[28:29], v[98:99]
	v_fma_f64 v[134:135], v[26:27], v[96:97], -v[10:11]
	;; [unrolled: 3-line block ×3, first 2 shown]
	v_mul_f64 v[10:11], v[110:111], v[90:91]
	v_fma_f64 v[142:143], v[108:109], v[88:89], -v[10:11]
	v_mul_f64 v[10:11], v[114:115], v[94:95]
	v_fma_f64 v[146:147], v[112:113], v[92:93], -v[10:11]
	v_mul_f64 v[10:11], v[126:127], v[98:99]
	v_mul_f64 v[132:133], v[14:15], v[94:95]
	;; [unrolled: 1-line block ×6, first 2 shown]
	v_fma_f64 v[150:151], v[124:125], v[96:97], -v[10:11]
	v_mul_f64 v[152:153], v[124:125], v[98:99]
	v_mul_f64 v[10:11], v[130:131], v[102:103]
	;; [unrolled: 1-line block ×3, first 2 shown]
	v_fmac_f64_e32 v[132:133], v[16:17], v[92:93]
	v_fmac_f64_e32 v[136:137], v[28:29], v[96:97]
	v_fmac_f64_e32 v[140:141], v[32:33], v[100:101]
	v_fmac_f64_e32 v[144:145], v[110:111], v[88:89]
	v_fmac_f64_e32 v[148:149], v[114:115], v[92:93]
	v_fmac_f64_e32 v[152:153], v[126:127], v[96:97]
	v_fma_f64 v[154:155], v[128:129], v[100:101], -v[10:11]
	v_fmac_f64_e32 v[156:157], v[130:131], v[100:101]
	v_add_f64 v[10:11], v[2:3], -v[38:39]
	v_add_f64 v[12:13], v[4:5], -v[42:43]
	v_fma_f64 v[2:3], v[2:3], 2.0, -v[10:11]
	v_fma_f64 v[4:5], v[4:5], 2.0, -v[12:13]
	v_add_f64 v[14:15], v[6:7], -v[44:45]
	v_add_f64 v[16:17], v[8:9], -v[132:133]
	;; [unrolled: 1-line block ×14, first 2 shown]
	v_fma_f64 v[6:7], v[6:7], 2.0, -v[14:15]
	v_fma_f64 v[8:9], v[8:9], 2.0, -v[16:17]
	;; [unrolled: 1-line block ×14, first 2 shown]
	ds_write_b128 v40, v[2:5]
	ds_write_b128 v40, v[10:13] offset:4352
	ds_write_b128 v40, v[6:9] offset:1088
	;; [unrolled: 1-line block ×15, first 2 shown]
	v_add_co_u32_e64 v2, s[0:1], s0, v0
	s_waitcnt lgkmcnt(0)
	s_nop 0
	v_addc_co_u32_e64 v3, s[0:1], 0, v1, s[0:1]
	s_barrier
	global_load_dwordx4 v[104:107], v[2:3], off offset:240
	global_load_dwordx4 v[108:111], v[2:3], off offset:1328
	;; [unrolled: 1-line block ×4, first 2 shown]
	s_movk_i32 s0, 0x3000
	v_add_co_u32_e64 v0, s[0:1], s0, v0
	s_nop 1
	v_addc_co_u32_e64 v1, s[0:1], 0, v1, s[0:1]
	global_load_dwordx4 v[120:123], v[0:1], off offset:496
	global_load_dwordx4 v[124:127], v[0:1], off offset:1584
	;; [unrolled: 1-line block ×4, first 2 shown]
	ds_read_b128 v[0:3], v40
	ds_read_b128 v[4:7], v40 offset:1088
	ds_read_b128 v[8:11], v40 offset:8704
	;; [unrolled: 1-line block ×15, first 2 shown]
	s_waitcnt vmcnt(7) lgkmcnt(13)
	v_mul_f64 v[42:43], v[10:11], v[106:107]
	v_fma_f64 v[42:43], v[8:9], v[104:105], -v[42:43]
	v_mul_f64 v[8:9], v[8:9], v[106:107]
	v_fmac_f64_e32 v[8:9], v[10:11], v[104:105]
	s_waitcnt vmcnt(6) lgkmcnt(12)
	v_mul_f64 v[10:11], v[14:15], v[110:111]
	v_fma_f64 v[10:11], v[12:13], v[108:109], -v[10:11]
	v_mul_f64 v[12:13], v[12:13], v[110:111]
	v_fmac_f64_e32 v[12:13], v[14:15], v[108:109]
	s_waitcnt vmcnt(5) lgkmcnt(9)
	v_mul_f64 v[14:15], v[26:27], v[114:115]
	v_fma_f64 v[14:15], v[24:25], v[112:113], -v[14:15]
	v_mul_f64 v[24:25], v[24:25], v[114:115]
	v_fmac_f64_e32 v[24:25], v[26:27], v[112:113]
	s_waitcnt vmcnt(4) lgkmcnt(8)
	v_mul_f64 v[26:27], v[30:31], v[118:119]
	v_fma_f64 v[26:27], v[28:29], v[116:117], -v[26:27]
	v_mul_f64 v[28:29], v[28:29], v[118:119]
	v_fmac_f64_e32 v[28:29], v[30:31], v[116:117]
	s_waitcnt vmcnt(3) lgkmcnt(5)
	v_mul_f64 v[30:31], v[138:139], v[122:123]
	v_fma_f64 v[30:31], v[136:137], v[120:121], -v[30:31]
	v_mul_f64 v[44:45], v[136:137], v[122:123]
	s_waitcnt vmcnt(2) lgkmcnt(4)
	v_mul_f64 v[136:137], v[142:143], v[126:127]
	v_fma_f64 v[176:177], v[140:141], v[124:125], -v[136:137]
	s_waitcnt vmcnt(1) lgkmcnt(1)
	v_mul_f64 v[136:137], v[146:147], v[130:131]
	v_mul_f64 v[178:179], v[140:141], v[126:127]
	v_fma_f64 v[188:189], v[144:145], v[128:129], -v[136:137]
	v_mul_f64 v[190:191], v[144:145], v[130:131]
	s_waitcnt vmcnt(0) lgkmcnt(0)
	v_mul_f64 v[136:137], v[150:151], v[134:135]
	v_mul_f64 v[198:199], v[148:149], v[134:135]
	v_fmac_f64_e32 v[44:45], v[138:139], v[120:121]
	v_fmac_f64_e32 v[178:179], v[142:143], v[124:125]
	;; [unrolled: 1-line block ×3, first 2 shown]
	v_fma_f64 v[196:197], v[148:149], v[132:133], -v[136:137]
	v_fmac_f64_e32 v[198:199], v[150:151], v[132:133]
	v_add_f64 v[140:141], v[0:1], -v[42:43]
	v_add_f64 v[142:143], v[2:3], -v[8:9]
	;; [unrolled: 1-line block ×16, first 2 shown]
	v_fma_f64 v[136:137], v[0:1], 2.0, -v[140:141]
	v_fma_f64 v[138:139], v[2:3], 2.0, -v[142:143]
	;; [unrolled: 1-line block ×16, first 2 shown]
	v_add_u32_e32 v0, v208, v247
	ds_write_b128 v41, v[136:139]
	ds_write_b128 v41, v[140:143] offset:8704
	ds_write_b128 v41, v[144:147] offset:1088
	;; [unrolled: 1-line block ×15, first 2 shown]
	s_waitcnt lgkmcnt(0)
	s_barrier
	s_and_saveexec_b64 s[0:1], vcc
	s_cbranch_execz .LBB0_9
; %bb.8:
	s_add_u32 s10, s2, 0x4400
	s_addc_u32 s11, s3, 0
	global_load_dwordx4 v[6:9], v242, s[10:11]
	ds_read_b128 v[2:5], v245
	v_or_b32_e32 v1, 0x1000, v242
	s_waitcnt vmcnt(0) lgkmcnt(0)
	v_mul_f64 v[10:11], v[4:5], v[8:9]
	v_mul_f64 v[12:13], v[2:3], v[8:9]
	v_fma_f64 v[10:11], v[2:3], v[6:7], -v[10:11]
	v_fmac_f64_e32 v[12:13], v[4:5], v[6:7]
	global_load_dwordx4 v[6:9], v242, s[10:11] offset:1024
	ds_write_b128 v245, v[10:13]
	ds_read_b128 v[2:5], v41 offset:1024
	ds_read_b128 v[200:203], v41 offset:16384
	s_waitcnt vmcnt(0) lgkmcnt(1)
	v_mul_f64 v[10:11], v[4:5], v[8:9]
	v_mul_f64 v[12:13], v[2:3], v[8:9]
	v_fma_f64 v[10:11], v[2:3], v[6:7], -v[10:11]
	v_fmac_f64_e32 v[12:13], v[4:5], v[6:7]
	global_load_dwordx4 v[6:9], v242, s[10:11] offset:2048
	ds_read_b128 v[2:5], v41 offset:2048
	ds_write_b128 v41, v[10:13] offset:1024
	s_waitcnt vmcnt(0) lgkmcnt(1)
	v_mul_f64 v[10:11], v[4:5], v[8:9]
	v_mul_f64 v[12:13], v[2:3], v[8:9]
	v_fma_f64 v[10:11], v[2:3], v[6:7], -v[10:11]
	v_fmac_f64_e32 v[12:13], v[4:5], v[6:7]
	global_load_dwordx4 v[6:9], v242, s[10:11] offset:3072
	ds_read_b128 v[2:5], v41 offset:3072
	ds_write_b128 v41, v[10:13] offset:2048
	s_waitcnt vmcnt(0) lgkmcnt(1)
	v_mul_f64 v[10:11], v[4:5], v[8:9]
	v_mul_f64 v[12:13], v[2:3], v[8:9]
	v_fma_f64 v[10:11], v[2:3], v[6:7], -v[10:11]
	v_fmac_f64_e32 v[12:13], v[4:5], v[6:7]
	global_load_dwordx4 v[6:9], v1, s[10:11]
	ds_read_b128 v[2:5], v41 offset:4096
	ds_write_b128 v41, v[10:13] offset:3072
	v_or_b32_e32 v1, 0x1400, v242
	s_waitcnt vmcnt(0) lgkmcnt(1)
	v_mul_f64 v[10:11], v[4:5], v[8:9]
	v_mul_f64 v[12:13], v[2:3], v[8:9]
	v_fma_f64 v[10:11], v[2:3], v[6:7], -v[10:11]
	v_fmac_f64_e32 v[12:13], v[4:5], v[6:7]
	global_load_dwordx4 v[6:9], v1, s[10:11]
	ds_read_b128 v[2:5], v41 offset:5120
	ds_write_b128 v41, v[10:13] offset:4096
	v_or_b32_e32 v1, 0x1800, v242
	;; [unrolled: 9-line block ×11, first 2 shown]
	s_waitcnt vmcnt(0) lgkmcnt(1)
	v_mul_f64 v[10:11], v[4:5], v[8:9]
	v_mul_f64 v[12:13], v[2:3], v[8:9]
	v_fma_f64 v[10:11], v[2:3], v[6:7], -v[10:11]
	v_fmac_f64_e32 v[12:13], v[4:5], v[6:7]
	global_load_dwordx4 v[6:9], v1, s[10:11]
	v_or_b32_e32 v1, 0x4000, v242
	global_load_dwordx4 v[204:207], v1, s[10:11]
	ds_read_b128 v[2:5], v41 offset:15360
	ds_write_b128 v41, v[10:13] offset:14336
	s_waitcnt vmcnt(1) lgkmcnt(1)
	v_mul_f64 v[10:11], v[4:5], v[8:9]
	v_mul_f64 v[12:13], v[2:3], v[8:9]
	v_fma_f64 v[10:11], v[2:3], v[6:7], -v[10:11]
	v_fmac_f64_e32 v[12:13], v[4:5], v[6:7]
	s_waitcnt vmcnt(0)
	v_mul_f64 v[2:3], v[202:203], v[206:207]
	v_mul_f64 v[4:5], v[200:201], v[206:207]
	v_fma_f64 v[2:3], v[200:201], v[204:205], -v[2:3]
	v_fmac_f64_e32 v[4:5], v[202:203], v[204:205]
	ds_write_b128 v41, v[10:13] offset:15360
	ds_write_b128 v41, v[2:5] offset:16384
.LBB0_9:
	s_or_b64 exec, exec, s[0:1]
	s_waitcnt lgkmcnt(0)
	s_barrier
	s_and_saveexec_b64 s[0:1], vcc
	s_cbranch_execz .LBB0_11
; %bb.10:
	ds_read_b128 v[136:139], v245
	ds_read_b128 v[140:143], v41 offset:1024
	ds_read_b128 v[144:147], v41 offset:2048
	;; [unrolled: 1-line block ×16, first 2 shown]
.LBB0_11:
	s_or_b64 exec, exec, s[0:1]
	v_add_u32_e32 v201, 0x1980, v0
	v_add_u32_e32 v200, 0x1dc0, v0
	s_waitcnt lgkmcnt(0)
	s_barrier
	s_and_saveexec_b64 s[0:1], vcc
	s_cbranch_execz .LBB0_13
; %bb.12:
	s_mov_b32 s34, 0xacd6c6b4
	v_accvgpr_write_b32 a16, v218
	s_mov_b32 s38, 0x5d8e7cdc
	v_add_f64 v[22:23], v[140:141], -v[248:249]
	s_mov_b32 s35, 0xbfc7851a
	v_accvgpr_write_b32 a32, v234
	s_mov_b32 s28, 0x7faef3
	v_accvgpr_write_b32 a12, v214
	v_accvgpr_write_b32 a17, v219
	v_accvgpr_write_b32 a18, v220
	v_accvgpr_write_b32 a19, v221
	s_mov_b32 s30, 0x4363dd80
	v_add_f64 v[20:21], v[144:145], -v[196:197]
	s_mov_b32 s39, 0x3fd71e95
	v_accvgpr_write_b32 a28, v230
	s_mov_b32 s24, 0x370991
	v_accvgpr_write_b32 a33, v235
	v_accvgpr_write_b32 a34, v236
	;; [unrolled: 1-line block ×3, first 2 shown]
	v_mul_f64 v[234:235], v[22:23], s[34:35]
	v_add_f64 v[220:221], v[250:251], v[142:143]
	s_mov_b32 s29, 0xbfef7484
	v_accvgpr_write_b32 a94, v112
	v_accvgpr_write_b32 a13, v215
	v_accvgpr_write_b32 a14, v216
	v_accvgpr_write_b32 a15, v217
	v_accvgpr_write_b32 a8, v210
	v_accvgpr_write_b32 a24, v226
	s_mov_b32 s44, 0x2a9d6da3
	v_add_f64 v[12:13], v[148:149], -v[192:193]
	s_mov_b32 s31, 0xbfe0d888
	s_mov_b32 s22, 0x910ea3b9
	v_accvgpr_write_b32 a29, v231
	v_accvgpr_write_b32 a30, v232
	;; [unrolled: 1-line block ×3, first 2 shown]
	v_mul_f64 v[232:233], v[20:21], s[38:39]
	v_add_f64 v[216:217], v[198:199], v[146:147]
	s_mov_b32 s25, 0x3fedd6d0
	v_fma_f64 v[24:25], s[28:29], v[220:221], v[234:235]
	v_accvgpr_write_b32 a95, v113
	v_accvgpr_write_b32 a96, v114
	;; [unrolled: 1-line block ×3, first 2 shown]
	v_mov_b64_e32 v[112:113], v[248:249]
	v_accvgpr_write_b32 a20, v222
	s_mov_b32 s26, 0x6c9a05f6
	v_accvgpr_write_b32 a9, v211
	v_accvgpr_write_b32 a10, v212
	;; [unrolled: 1-line block ×6, first 2 shown]
	v_add_f64 v[226:227], v[152:153], -v[188:189]
	s_mov_b32 s45, 0x3fe58eea
	s_mov_b32 s18, 0x75d4884
	v_mul_f64 v[206:207], v[12:13], s[30:31]
	v_add_f64 v[212:213], v[150:151], v[194:195]
	s_mov_b32 s23, 0xbfeb34fa
	v_fma_f64 v[18:19], s[24:25], v[216:217], v[232:233]
	v_add_f64 v[24:25], v[138:139], v[24:25]
	v_mov_b64_e32 v[114:115], v[250:251]
	s_mov_b32 s36, 0x7c9e640b
	v_accvgpr_write_b32 a21, v223
	v_accvgpr_write_b32 a22, v224
	;; [unrolled: 1-line block ×3, first 2 shown]
	v_add_f64 v[222:223], v[156:157], -v[184:185]
	s_mov_b32 s27, 0xbfe9895b
	s_mov_b32 s16, 0x6ed5f1bb
	v_mul_f64 v[204:205], v[226:227], s[44:45]
	v_accvgpr_write_b32 a0, v252
	v_accvgpr_write_b32 a57, v253
	v_add_f64 v[252:253], v[154:155], v[190:191]
	s_mov_b32 s19, 0x3fe7a5f6
	v_fma_f64 v[16:17], s[22:23], v[212:213], v[206:207]
	v_add_f64 v[18:19], v[18:19], v[24:25]
	v_add_f64 v[38:39], v[142:143], -v[114:115]
	s_mov_b32 s20, 0x923c349f
	v_add_f64 v[218:219], v[160:161], -v[180:181]
	s_mov_b32 s37, 0x3feca52d
	s_mov_b32 s14, 0x2b2883cd
	v_mul_f64 v[202:203], v[222:223], s[26:27]
	v_add_f64 v[210:211], v[186:187], v[158:159]
	s_mov_b32 s17, 0xbfe348c8
	v_fma_f64 v[14:15], s[18:19], v[252:253], v[204:205]
	v_add_f64 v[16:17], v[16:17], v[18:19]
	v_add_f64 v[36:37], v[146:147], -v[198:199]
	v_add_f64 v[18:19], v[112:113], v[140:141]
	v_mul_f64 v[66:67], v[38:39], s[34:35]
	s_mov_b32 s48, 0xeb564b22
	v_add_f64 v[214:215], v[164:165], -v[176:177]
	s_mov_b32 s21, 0xbfeec746
	s_mov_b32 s12, 0xc61f0d01
	v_accvgpr_write_b32 a85, v200
	v_accvgpr_write_b32 a98, v201
	v_mul_f64 v[200:201], v[218:219], s[36:37]
	v_accvgpr_write_b32 a6, v208
	v_add_f64 v[208:209], v[182:183], v[162:163]
	s_mov_b32 s15, 0x3fdc86fa
	v_fma_f64 v[10:11], s[16:17], v[210:211], v[202:203]
	v_add_f64 v[14:15], v[14:15], v[16:17]
	v_add_f64 v[34:35], v[150:151], -v[194:195]
	v_add_f64 v[16:17], v[196:197], v[144:145]
	v_mul_f64 v[50:51], v[36:37], s[38:39]
	v_fma_f64 v[68:69], v[18:19], s[28:29], -v[66:67]
	v_accvgpr_write_b32 a58, v254
	v_accvgpr_write_b32 a59, v255
	v_add_f64 v[254:255], v[168:169], -v[172:173]
	s_mov_b32 s49, 0x3fefdd0d
	s_mov_b32 s10, 0x3259b75e
	v_mul_f64 v[44:45], v[214:215], s[20:21]
	v_add_f64 v[2:3], v[166:167], v[178:179]
	s_mov_b32 s13, 0xbfd183b1
	v_fma_f64 v[8:9], s[14:15], v[208:209], v[200:201]
	v_add_f64 v[10:11], v[10:11], v[14:15]
	v_add_f64 v[32:33], v[154:155], -v[190:191]
	v_add_f64 v[14:15], v[148:149], v[192:193]
	v_mul_f64 v[230:231], v[34:35], s[30:31]
	v_fma_f64 v[64:65], v[16:17], s[24:25], -v[50:51]
	v_add_f64 v[68:69], v[136:137], v[68:69]
	v_mul_f64 v[42:43], v[254:255], s[48:49]
	v_add_f64 v[0:1], v[170:171], v[174:175]
	s_mov_b32 s11, 0x3fb79ee6
	v_fma_f64 v[6:7], s[12:13], v[2:3], v[44:45]
	v_add_f64 v[8:9], v[8:9], v[10:11]
	v_add_f64 v[30:31], v[158:159], -v[186:187]
	v_add_f64 v[10:11], v[152:153], v[188:189]
	v_mul_f64 v[46:47], v[32:33], s[44:45]
	v_fma_f64 v[48:49], v[14:15], s[22:23], -v[230:231]
	v_add_f64 v[64:65], v[64:65], v[68:69]
	v_fma_f64 v[4:5], s[10:11], v[0:1], v[42:43]
	v_add_f64 v[6:7], v[6:7], v[8:9]
	v_add_f64 v[28:29], v[162:163], -v[182:183]
	v_add_f64 v[8:9], v[184:185], v[156:157]
	v_mul_f64 v[248:249], v[30:31], s[26:27]
	v_fma_f64 v[228:229], v[10:11], s[18:19], -v[46:47]
	v_add_f64 v[48:49], v[48:49], v[64:65]
	v_add_f64 v[70:71], v[4:5], v[6:7]
	v_accvgpr_write_b32 a36, v238
	v_add_f64 v[26:27], v[166:167], -v[178:179]
	v_add_f64 v[6:7], v[180:181], v[160:161]
	v_accvgpr_write_b32 a3, v244
	v_accvgpr_write_b32 a5, v245
	v_mul_f64 v[244:245], v[28:29], s[36:37]
	v_fma_f64 v[250:251], v[8:9], s[16:17], -v[248:249]
	v_add_f64 v[48:49], v[228:229], v[48:49]
	v_add_f64 v[24:25], v[170:171], -v[174:175]
	v_accvgpr_write_b32 a37, v239
	v_accvgpr_write_b32 a38, v240
	;; [unrolled: 1-line block ×3, first 2 shown]
	v_add_f64 v[4:5], v[164:165], v[176:177]
	v_mul_f64 v[240:241], v[26:27], s[20:21]
	v_accvgpr_write_b32 a4, v246
	v_accvgpr_write_b32 a99, v247
	v_fma_f64 v[246:247], v[6:7], s[14:15], -v[244:245]
	v_add_f64 v[48:49], v[250:251], v[48:49]
	v_add_f64 v[224:225], v[168:169], v[172:173]
	v_mul_f64 v[236:237], v[24:25], s[48:49]
	v_accvgpr_write_b32 a1, v242
	v_accvgpr_write_b32 a2, v243
	v_fma_f64 v[242:243], v[4:5], s[12:13], -v[240:241]
	v_add_f64 v[48:49], v[246:247], v[48:49]
	v_fma_f64 v[238:239], v[224:225], s[10:11], -v[236:237]
	v_add_f64 v[48:49], v[242:243], v[48:49]
	v_fma_f64 v[64:65], v[210:211], s[16:17], -v[202:203]
	v_fma_f64 v[202:203], v[220:221], s[28:29], -v[234:235]
	v_add_f64 v[68:69], v[238:239], v[48:49]
	v_accvgpr_write_b32 a103, v71
	v_fma_f64 v[48:49], v[208:209], s[14:15], -v[200:201]
	v_fma_f64 v[200:201], v[216:217], s[24:25], -v[232:233]
	v_add_f64 v[202:203], v[138:139], v[202:203]
	v_accvgpr_write_b32 a102, v70
	v_accvgpr_write_b32 a101, v69
	;; [unrolled: 1-line block ×3, first 2 shown]
	v_fma_f64 v[70:71], v[212:213], s[22:23], -v[206:207]
	v_add_f64 v[200:201], v[200:201], v[202:203]
	v_fma_f64 v[68:69], v[252:253], s[18:19], -v[204:205]
	v_add_f64 v[70:71], v[70:71], v[200:201]
	v_add_f64 v[68:69], v[68:69], v[70:71]
	;; [unrolled: 1-line block ×3, first 2 shown]
	v_fma_f64 v[44:45], v[2:3], s[12:13], -v[44:45]
	v_add_f64 v[48:49], v[48:49], v[64:65]
	v_fma_f64 v[42:43], v[0:1], s[10:11], -v[42:43]
	v_add_f64 v[44:45], v[44:45], v[48:49]
	v_fmac_f64_e32 v[66:67], s[28:29], v[18:19]
	v_add_f64 v[44:45], v[42:43], v[44:45]
	v_fmac_f64_e32 v[50:51], s[24:25], v[16:17]
	;; [unrolled: 2-line block ×3, first 2 shown]
	v_add_f64 v[42:43], v[50:51], v[42:43]
	v_add_f64 v[42:43], v[230:231], v[42:43]
	v_mul_f64 v[230:231], v[22:23], s[30:31]
	v_fmac_f64_e32 v[46:47], s[18:19], v[10:11]
	s_mov_b32 s43, 0xbfefdd0d
	s_mov_b32 s42, s48
	v_mul_f64 v[206:207], v[20:21], s[36:37]
	v_fma_f64 v[232:233], s[22:23], v[220:221], v[230:231]
	v_fmac_f64_e32 v[248:249], s[16:17], v[8:9]
	v_add_f64 v[42:43], v[46:47], v[42:43]
	s_mov_b32 s55, 0x3fe9895b
	s_mov_b32 s54, s26
	v_mul_f64 v[202:203], v[12:13], s[42:43]
	v_fma_f64 v[228:229], s[14:15], v[216:217], v[206:207]
	v_add_f64 v[232:233], v[138:139], v[232:233]
	v_mul_f64 v[246:247], v[38:39], s[30:31]
	v_fmac_f64_e32 v[244:245], s[14:15], v[6:7]
	v_add_f64 v[42:43], v[248:249], v[42:43]
	s_mov_b32 s41, 0xbfd71e95
	s_mov_b32 s40, s38
	v_mul_f64 v[70:71], v[226:227], s[54:55]
	v_fma_f64 v[204:205], s[10:11], v[212:213], v[202:203]
	v_add_f64 v[228:229], v[228:229], v[232:233]
	v_mul_f64 v[242:243], v[36:37], s[36:37]
	v_fma_f64 v[248:249], v[18:19], s[22:23], -v[246:247]
	v_fmac_f64_e32 v[240:241], s[12:13], v[4:5]
	v_add_f64 v[42:43], v[244:245], v[42:43]
	v_mul_f64 v[66:67], v[222:223], s[40:41]
	v_fma_f64 v[200:201], s[16:17], v[252:253], v[70:71]
	v_add_f64 v[204:205], v[204:205], v[228:229]
	v_mul_f64 v[238:239], v[34:35], s[42:43]
	v_fma_f64 v[244:245], v[16:17], s[14:15], -v[242:243]
	v_add_f64 v[248:249], v[136:137], v[248:249]
	v_fmac_f64_e32 v[236:237], s[10:11], v[224:225]
	v_add_f64 v[42:43], v[240:241], v[42:43]
	v_mul_f64 v[50:51], v[218:219], s[34:35]
	v_fma_f64 v[68:69], s[24:25], v[210:211], v[66:67]
	v_add_f64 v[200:201], v[200:201], v[204:205]
	v_mul_f64 v[234:235], v[32:33], s[54:55]
	v_fma_f64 v[240:241], v[14:15], s[10:11], -v[238:239]
	v_add_f64 v[244:245], v[244:245], v[248:249]
	v_add_f64 v[42:43], v[236:237], v[42:43]
	v_accvgpr_write_b32 a107, v45
	v_mul_f64 v[46:47], v[214:215], s[44:45]
	v_fma_f64 v[64:65], s[28:29], v[208:209], v[50:51]
	v_add_f64 v[68:69], v[68:69], v[200:201]
	v_mul_f64 v[228:229], v[30:31], s[40:41]
	v_fma_f64 v[236:237], v[10:11], s[16:17], -v[234:235]
	v_add_f64 v[240:241], v[240:241], v[244:245]
	v_accvgpr_write_b32 a106, v44
	v_accvgpr_write_b32 a105, v43
	;; [unrolled: 1-line block ×3, first 2 shown]
	v_mul_f64 v[42:43], v[254:255], s[20:21]
	v_fma_f64 v[48:49], s[18:19], v[2:3], v[46:47]
	v_add_f64 v[64:65], v[64:65], v[68:69]
	v_mul_f64 v[200:201], v[28:29], s[34:35]
	v_fma_f64 v[232:233], v[8:9], s[24:25], -v[228:229]
	v_add_f64 v[236:237], v[236:237], v[240:241]
	v_fma_f64 v[44:45], s[12:13], v[0:1], v[42:43]
	v_add_f64 v[48:49], v[48:49], v[64:65]
	v_mul_f64 v[64:65], v[26:27], s[44:45]
	v_fma_f64 v[204:205], v[6:7], s[28:29], -v[200:201]
	v_add_f64 v[232:233], v[232:233], v[236:237]
	v_add_f64 v[74:75], v[44:45], v[48:49]
	v_mul_f64 v[44:45], v[24:25], s[20:21]
	v_fma_f64 v[68:69], v[4:5], s[18:19], -v[64:65]
	v_add_f64 v[204:205], v[204:205], v[232:233]
	v_fma_f64 v[48:49], v[224:225], s[12:13], -v[44:45]
	v_add_f64 v[68:69], v[68:69], v[204:205]
	v_add_f64 v[72:73], v[48:49], v[68:69]
	v_fma_f64 v[68:69], v[212:213], s[10:11], -v[202:203]
	v_fma_f64 v[202:203], v[220:221], s[22:23], -v[230:231]
	;; [unrolled: 1-line block ×6, first 2 shown]
	v_add_f64 v[202:203], v[138:139], v[202:203]
	v_add_f64 v[70:71], v[70:71], v[202:203]
	v_add_f64 v[68:69], v[68:69], v[70:71]
	v_add_f64 v[66:67], v[66:67], v[68:69]
	v_add_f64 v[50:51], v[50:51], v[66:67]
	v_fma_f64 v[46:47], v[2:3], s[18:19], -v[46:47]
	v_add_f64 v[48:49], v[48:49], v[50:51]
	v_fma_f64 v[42:43], v[0:1], s[12:13], -v[42:43]
	v_add_f64 v[46:47], v[46:47], v[48:49]
	v_fmac_f64_e32 v[246:247], s[22:23], v[18:19]
	v_add_f64 v[46:47], v[42:43], v[46:47]
	v_fmac_f64_e32 v[242:243], s[14:15], v[16:17]
	;; [unrolled: 2-line block ×4, first 2 shown]
	v_add_f64 v[42:43], v[238:239], v[42:43]
	s_mov_b32 s53, 0x3feec746
	s_mov_b32 s52, s20
	v_mul_f64 v[230:231], v[22:23], s[26:27]
	v_fmac_f64_e32 v[228:229], s[24:25], v[8:9]
	v_add_f64 v[42:43], v[234:235], v[42:43]
	v_mul_f64 v[206:207], v[20:21], s[52:53]
	v_fma_f64 v[232:233], s[16:17], v[220:221], v[230:231]
	v_fmac_f64_e32 v[200:201], s[28:29], v[6:7]
	v_add_f64 v[42:43], v[228:229], v[42:43]
	v_mul_f64 v[202:203], v[12:13], s[40:41]
	v_fma_f64 v[228:229], s[12:13], v[216:217], v[206:207]
	v_add_f64 v[232:233], v[138:139], v[232:233]
	v_mul_f64 v[246:247], v[38:39], s[26:27]
	v_fmac_f64_e32 v[64:65], s[18:19], v[4:5]
	v_add_f64 v[42:43], v[200:201], v[42:43]
	v_mul_f64 v[70:71], v[226:227], s[30:31]
	v_fma_f64 v[204:205], s[24:25], v[212:213], v[202:203]
	v_add_f64 v[228:229], v[228:229], v[232:233]
	v_mul_f64 v[242:243], v[36:37], s[52:53]
	v_fma_f64 v[248:249], v[18:19], s[16:17], -v[246:247]
	v_fmac_f64_e32 v[44:45], s[12:13], v[224:225]
	v_add_f64 v[42:43], v[64:65], v[42:43]
	s_mov_b32 s47, 0xbfe58eea
	s_mov_b32 s46, s44
	v_mul_f64 v[66:67], v[222:223], s[48:49]
	v_fma_f64 v[200:201], s[22:23], v[252:253], v[70:71]
	v_add_f64 v[204:205], v[204:205], v[228:229]
	v_mul_f64 v[238:239], v[34:35], s[40:41]
	v_fma_f64 v[244:245], v[16:17], s[12:13], -v[242:243]
	v_add_f64 v[248:249], v[136:137], v[248:249]
	v_add_f64 v[44:45], v[44:45], v[42:43]
	v_accvgpr_write_b32 a115, v47
	v_mul_f64 v[50:51], v[218:219], s[46:47]
	v_fma_f64 v[68:69], s[10:11], v[210:211], v[66:67]
	v_add_f64 v[200:201], v[200:201], v[204:205]
	v_mul_f64 v[234:235], v[32:33], s[30:31]
	v_fma_f64 v[240:241], v[14:15], s[24:25], -v[238:239]
	v_add_f64 v[244:245], v[244:245], v[248:249]
	v_accvgpr_write_b32 a114, v46
	v_accvgpr_write_b32 a113, v45
	;; [unrolled: 1-line block ×3, first 2 shown]
	v_mul_f64 v[46:47], v[214:215], s[34:35]
	v_fma_f64 v[64:65], s[18:19], v[208:209], v[50:51]
	v_add_f64 v[68:69], v[68:69], v[200:201]
	v_mul_f64 v[228:229], v[30:31], s[48:49]
	v_fma_f64 v[236:237], v[10:11], s[22:23], -v[234:235]
	v_add_f64 v[240:241], v[240:241], v[244:245]
	v_mul_f64 v[42:43], v[254:255], s[36:37]
	v_fma_f64 v[48:49], s[28:29], v[2:3], v[46:47]
	v_add_f64 v[64:65], v[64:65], v[68:69]
	v_mul_f64 v[200:201], v[28:29], s[46:47]
	v_fma_f64 v[232:233], v[8:9], s[10:11], -v[228:229]
	v_add_f64 v[236:237], v[236:237], v[240:241]
	v_accvgpr_write_b32 a111, v75
	v_fma_f64 v[44:45], s[14:15], v[0:1], v[42:43]
	v_add_f64 v[48:49], v[48:49], v[64:65]
	v_mul_f64 v[64:65], v[26:27], s[34:35]
	v_fma_f64 v[204:205], v[6:7], s[18:19], -v[200:201]
	v_add_f64 v[232:233], v[232:233], v[236:237]
	v_accvgpr_write_b32 a110, v74
	v_accvgpr_write_b32 a109, v73
	;; [unrolled: 1-line block ×3, first 2 shown]
	v_add_f64 v[74:75], v[44:45], v[48:49]
	v_mul_f64 v[44:45], v[24:25], s[36:37]
	v_fma_f64 v[68:69], v[4:5], s[28:29], -v[64:65]
	v_add_f64 v[204:205], v[204:205], v[232:233]
	v_fma_f64 v[48:49], v[224:225], s[14:15], -v[44:45]
	v_add_f64 v[68:69], v[68:69], v[204:205]
	v_add_f64 v[72:73], v[48:49], v[68:69]
	v_fma_f64 v[68:69], v[212:213], s[24:25], -v[202:203]
	v_fma_f64 v[202:203], v[220:221], s[16:17], -v[230:231]
	;; [unrolled: 1-line block ×6, first 2 shown]
	v_add_f64 v[202:203], v[138:139], v[202:203]
	v_add_f64 v[70:71], v[70:71], v[202:203]
	;; [unrolled: 1-line block ×5, first 2 shown]
	v_fma_f64 v[46:47], v[2:3], s[28:29], -v[46:47]
	v_add_f64 v[48:49], v[48:49], v[50:51]
	v_fma_f64 v[42:43], v[0:1], s[14:15], -v[42:43]
	v_add_f64 v[46:47], v[46:47], v[48:49]
	v_fmac_f64_e32 v[246:247], s[16:17], v[18:19]
	v_add_f64 v[46:47], v[42:43], v[46:47]
	v_fmac_f64_e32 v[242:243], s[12:13], v[16:17]
	;; [unrolled: 2-line block ×5, first 2 shown]
	v_add_f64 v[42:43], v[234:235], v[42:43]
	s_mov_b32 s57, 0x3fe0d888
	s_mov_b32 s56, s30
	v_mul_f64 v[230:231], v[22:23], s[20:21]
	v_add_f64 v[42:43], v[228:229], v[42:43]
	v_mul_f64 v[228:229], v[20:21], s[56:57]
	v_fma_f64 v[232:233], s[12:13], v[220:221], v[230:231]
	v_fmac_f64_e32 v[200:201], s[18:19], v[6:7]
	s_mov_b32 s51, 0xbfeca52d
	s_mov_b32 s50, s36
	v_mul_f64 v[202:203], v[12:13], s[44:45]
	v_fma_f64 v[206:207], s[22:23], v[216:217], v[228:229]
	v_add_f64 v[232:233], v[138:139], v[232:233]
	v_mul_f64 v[248:249], v[38:39], s[20:21]
	v_fmac_f64_e32 v[64:65], s[28:29], v[4:5]
	v_add_f64 v[42:43], v[200:201], v[42:43]
	v_mul_f64 v[70:71], v[226:227], s[50:51]
	v_fma_f64 v[204:205], s[18:19], v[212:213], v[202:203]
	v_add_f64 v[206:207], v[206:207], v[232:233]
	v_mul_f64 v[244:245], v[36:37], s[56:57]
	v_fma_f64 v[250:251], v[18:19], s[12:13], -v[248:249]
	v_fmac_f64_e32 v[44:45], s[14:15], v[224:225]
	v_add_f64 v[42:43], v[64:65], v[42:43]
	v_mul_f64 v[66:67], v[222:223], s[34:35]
	v_fma_f64 v[200:201], s[14:15], v[252:253], v[70:71]
	v_add_f64 v[204:205], v[204:205], v[206:207]
	v_mul_f64 v[240:241], v[34:35], s[44:45]
	v_fma_f64 v[246:247], v[16:17], s[22:23], -v[244:245]
	v_add_f64 v[250:251], v[136:137], v[250:251]
	v_add_f64 v[44:45], v[44:45], v[42:43]
	v_accvgpr_write_b32 a123, v47
	v_mul_f64 v[50:51], v[218:219], s[48:49]
	v_fma_f64 v[68:69], s[28:29], v[210:211], v[66:67]
	v_add_f64 v[200:201], v[200:201], v[204:205]
	v_mul_f64 v[236:237], v[32:33], s[50:51]
	v_fma_f64 v[242:243], v[14:15], s[18:19], -v[240:241]
	v_add_f64 v[246:247], v[246:247], v[250:251]
	v_accvgpr_write_b32 a122, v46
	v_accvgpr_write_b32 a121, v45
	;; [unrolled: 1-line block ×3, first 2 shown]
	v_mul_f64 v[46:47], v[214:215], s[40:41]
	v_fma_f64 v[64:65], s[10:11], v[208:209], v[50:51]
	v_add_f64 v[68:69], v[68:69], v[200:201]
	v_mul_f64 v[232:233], v[30:31], s[34:35]
	v_fma_f64 v[238:239], v[10:11], s[14:15], -v[236:237]
	v_add_f64 v[242:243], v[242:243], v[246:247]
	v_mul_f64 v[42:43], v[254:255], s[26:27]
	v_fma_f64 v[48:49], s[24:25], v[2:3], v[46:47]
	v_add_f64 v[64:65], v[64:65], v[68:69]
	v_mul_f64 v[200:201], v[28:29], s[48:49]
	v_fma_f64 v[234:235], v[8:9], s[28:29], -v[232:233]
	v_add_f64 v[238:239], v[238:239], v[242:243]
	v_fma_f64 v[44:45], s[16:17], v[0:1], v[42:43]
	v_add_f64 v[48:49], v[48:49], v[64:65]
	v_mul_f64 v[64:65], v[26:27], s[40:41]
	v_fma_f64 v[204:205], v[6:7], s[10:11], -v[200:201]
	v_add_f64 v[234:235], v[234:235], v[238:239]
	v_add_f64 v[206:207], v[44:45], v[48:49]
	v_mul_f64 v[44:45], v[24:25], s[26:27]
	v_fma_f64 v[68:69], v[4:5], s[24:25], -v[64:65]
	v_add_f64 v[204:205], v[204:205], v[234:235]
	v_fma_f64 v[48:49], v[224:225], s[16:17], -v[44:45]
	v_add_f64 v[68:69], v[68:69], v[204:205]
	v_add_f64 v[204:205], v[48:49], v[68:69]
	v_fma_f64 v[68:69], v[212:213], s[18:19], -v[202:203]
	v_fma_f64 v[202:203], v[220:221], s[12:13], -v[230:231]
	;; [unrolled: 1-line block ×6, first 2 shown]
	v_add_f64 v[202:203], v[138:139], v[202:203]
	v_add_f64 v[70:71], v[70:71], v[202:203]
	;; [unrolled: 1-line block ×5, first 2 shown]
	v_fma_f64 v[46:47], v[2:3], s[24:25], -v[46:47]
	v_add_f64 v[48:49], v[48:49], v[50:51]
	v_fma_f64 v[42:43], v[0:1], s[16:17], -v[42:43]
	v_add_f64 v[46:47], v[46:47], v[48:49]
	v_fmac_f64_e32 v[248:249], s[12:13], v[18:19]
	v_add_f64 v[202:203], v[42:43], v[46:47]
	v_fmac_f64_e32 v[244:245], s[22:23], v[16:17]
	v_add_f64 v[42:43], v[136:137], v[248:249]
	v_fmac_f64_e32 v[240:241], s[18:19], v[14:15]
	v_add_f64 v[42:43], v[244:245], v[42:43]
	v_fmac_f64_e32 v[236:237], s[14:15], v[10:11]
	v_add_f64 v[42:43], v[240:241], v[42:43]
	v_mul_f64 v[238:239], v[22:23], s[42:43]
	v_add_f64 v[42:43], v[236:237], v[42:43]
	v_mul_f64 v[236:237], v[20:21], s[34:35]
	v_fma_f64 v[240:241], s[10:11], v[220:221], v[238:239]
	v_accvgpr_write_b32 a119, v75
	v_fmac_f64_e32 v[232:233], s[28:29], v[8:9]
	v_mul_f64 v[230:231], v[12:13], s[52:53]
	v_fma_f64 v[234:235], s[28:29], v[216:217], v[236:237]
	v_add_f64 v[240:241], v[138:139], v[240:241]
	v_mul_f64 v[76:77], v[38:39], s[42:43]
	v_accvgpr_write_b32 a118, v74
	v_accvgpr_write_b32 a117, v73
	;; [unrolled: 1-line block ×3, first 2 shown]
	v_add_f64 v[42:43], v[232:233], v[42:43]
	v_mul_f64 v[70:71], v[226:227], s[38:39]
	v_fma_f64 v[232:233], s[12:13], v[212:213], v[230:231]
	v_add_f64 v[234:235], v[234:235], v[240:241]
	v_mul_f64 v[72:73], v[36:37], s[34:35]
	v_fma_f64 v[78:79], v[18:19], s[10:11], -v[76:77]
	v_fmac_f64_e32 v[200:201], s[10:11], v[6:7]
	v_mul_f64 v[66:67], v[222:223], s[50:51]
	v_fma_f64 v[228:229], s[24:25], v[252:253], v[70:71]
	v_add_f64 v[232:233], v[232:233], v[234:235]
	v_mul_f64 v[248:249], v[34:35], s[52:53]
	v_fma_f64 v[74:75], v[16:17], s[28:29], -v[72:73]
	v_add_f64 v[78:79], v[136:137], v[78:79]
	v_fmac_f64_e32 v[64:65], s[24:25], v[4:5]
	v_add_f64 v[42:43], v[200:201], v[42:43]
	v_mul_f64 v[50:51], v[218:219], s[30:31]
	v_fma_f64 v[68:69], s[14:15], v[210:211], v[66:67]
	v_add_f64 v[228:229], v[228:229], v[232:233]
	v_mul_f64 v[244:245], v[32:33], s[38:39]
	v_fma_f64 v[250:251], v[14:15], s[12:13], -v[248:249]
	v_add_f64 v[74:75], v[74:75], v[78:79]
	v_fmac_f64_e32 v[44:45], s[16:17], v[224:225]
	v_add_f64 v[42:43], v[64:65], v[42:43]
	v_mul_f64 v[46:47], v[214:215], s[54:55]
	v_fma_f64 v[64:65], s[22:23], v[208:209], v[50:51]
	v_add_f64 v[68:69], v[68:69], v[228:229]
	v_mul_f64 v[240:241], v[30:31], s[50:51]
	v_fma_f64 v[246:247], v[10:11], s[24:25], -v[244:245]
	v_add_f64 v[74:75], v[250:251], v[74:75]
	v_add_f64 v[200:201], v[44:45], v[42:43]
	v_mul_f64 v[42:43], v[254:255], s[44:45]
	v_fma_f64 v[48:49], s[16:17], v[2:3], v[46:47]
	v_add_f64 v[64:65], v[64:65], v[68:69]
	v_mul_f64 v[228:229], v[28:29], s[30:31]
	v_fma_f64 v[242:243], v[8:9], s[14:15], -v[240:241]
	v_add_f64 v[74:75], v[246:247], v[74:75]
	v_fma_f64 v[44:45], s[18:19], v[0:1], v[42:43]
	v_add_f64 v[48:49], v[48:49], v[64:65]
	v_mul_f64 v[64:65], v[26:27], s[54:55]
	v_fma_f64 v[232:233], v[6:7], s[22:23], -v[228:229]
	v_add_f64 v[74:75], v[242:243], v[74:75]
	v_add_f64 v[234:235], v[44:45], v[48:49]
	v_mul_f64 v[44:45], v[24:25], s[44:45]
	v_fma_f64 v[68:69], v[4:5], s[16:17], -v[64:65]
	v_add_f64 v[74:75], v[232:233], v[74:75]
	v_fma_f64 v[48:49], v[224:225], s[18:19], -v[44:45]
	v_add_f64 v[68:69], v[68:69], v[74:75]
	;; [unrolled: 2-line block ×3, first 2 shown]
	v_fma_f64 v[48:49], v[208:209], s[22:23], -v[50:51]
	v_fma_f64 v[50:51], v[210:211], s[14:15], -v[66:67]
	;; [unrolled: 1-line block ×4, first 2 shown]
	v_add_f64 v[74:75], v[138:139], v[74:75]
	v_fma_f64 v[68:69], v[212:213], s[12:13], -v[230:231]
	v_add_f64 v[70:71], v[70:71], v[74:75]
	v_add_f64 v[68:69], v[68:69], v[70:71]
	;; [unrolled: 1-line block ×4, first 2 shown]
	v_fma_f64 v[46:47], v[2:3], s[16:17], -v[46:47]
	v_add_f64 v[48:49], v[48:49], v[50:51]
	v_fma_f64 v[42:43], v[0:1], s[18:19], -v[42:43]
	v_add_f64 v[46:47], v[46:47], v[48:49]
	v_fmac_f64_e32 v[76:77], s[10:11], v[18:19]
	v_add_f64 v[238:239], v[42:43], v[46:47]
	v_fmac_f64_e32 v[72:73], s[28:29], v[16:17]
	;; [unrolled: 2-line block ×5, first 2 shown]
	v_add_f64 v[42:43], v[244:245], v[42:43]
	v_mul_f64 v[230:231], v[22:23], s[50:51]
	v_fmac_f64_e32 v[228:229], s[22:23], v[6:7]
	v_add_f64 v[42:43], v[240:241], v[42:43]
	s_mov_b32 s49, 0x3fc7851a
	s_mov_b32 s48, s34
	v_mul_f64 v[78:79], v[20:21], s[26:27]
	v_fma_f64 v[240:241], s[14:15], v[220:221], v[230:231]
	v_add_f64 v[42:43], v[228:229], v[42:43]
	v_mul_f64 v[74:75], v[12:13], s[48:49]
	v_fma_f64 v[228:229], s[16:17], v[216:217], v[78:79]
	v_add_f64 v[240:241], v[138:139], v[240:241]
	v_mul_f64 v[84:85], v[38:39], s[50:51]
	v_mul_f64 v[70:71], v[226:227], s[52:53]
	v_fma_f64 v[76:77], s[28:29], v[212:213], v[74:75]
	v_add_f64 v[228:229], v[228:229], v[240:241]
	v_mul_f64 v[80:81], v[36:37], s[26:27]
	v_accvgpr_write_b32 a7, v86
	v_accvgpr_write_b32 a56, v87
	v_fma_f64 v[86:87], v[18:19], s[14:15], -v[84:85]
	v_mul_f64 v[66:67], v[222:223], s[44:45]
	v_fma_f64 v[72:73], s[12:13], v[252:253], v[70:71]
	v_add_f64 v[76:77], v[76:77], v[228:229]
	v_mul_f64 v[248:249], v[34:35], s[48:49]
	v_fma_f64 v[82:83], v[16:17], s[16:17], -v[80:81]
	v_add_f64 v[86:87], v[136:137], v[86:87]
	v_fmac_f64_e32 v[64:65], s[16:17], v[4:5]
	v_mul_f64 v[50:51], v[218:219], s[40:41]
	v_fma_f64 v[68:69], s[18:19], v[210:211], v[66:67]
	v_add_f64 v[72:73], v[72:73], v[76:77]
	v_mul_f64 v[244:245], v[32:33], s[52:53]
	v_fma_f64 v[250:251], v[14:15], s[28:29], -v[248:249]
	v_add_f64 v[82:83], v[82:83], v[86:87]
	v_fmac_f64_e32 v[44:45], s[18:19], v[224:225]
	v_add_f64 v[42:43], v[64:65], v[42:43]
	v_mul_f64 v[46:47], v[214:215], s[42:43]
	v_fma_f64 v[64:65], s[24:25], v[208:209], v[50:51]
	v_add_f64 v[68:69], v[68:69], v[72:73]
	v_mul_f64 v[228:229], v[30:31], s[44:45]
	v_fma_f64 v[246:247], v[10:11], s[12:13], -v[244:245]
	v_add_f64 v[82:83], v[250:251], v[82:83]
	v_add_f64 v[236:237], v[44:45], v[42:43]
	v_mul_f64 v[42:43], v[254:255], s[30:31]
	v_fma_f64 v[48:49], s[10:11], v[2:3], v[46:47]
	v_add_f64 v[64:65], v[64:65], v[68:69]
	v_mul_f64 v[72:73], v[28:29], s[40:41]
	v_fma_f64 v[240:241], v[8:9], s[18:19], -v[228:229]
	v_add_f64 v[82:83], v[246:247], v[82:83]
	v_fma_f64 v[44:45], s[22:23], v[0:1], v[42:43]
	v_add_f64 v[48:49], v[48:49], v[64:65]
	v_mul_f64 v[64:65], v[26:27], s[42:43]
	v_fma_f64 v[76:77], v[6:7], s[24:25], -v[72:73]
	v_add_f64 v[82:83], v[240:241], v[82:83]
	v_add_f64 v[242:243], v[44:45], v[48:49]
	v_mul_f64 v[44:45], v[24:25], s[30:31]
	v_fma_f64 v[68:69], v[4:5], s[10:11], -v[64:65]
	v_add_f64 v[76:77], v[76:77], v[82:83]
	v_fma_f64 v[48:49], v[224:225], s[22:23], -v[44:45]
	v_add_f64 v[68:69], v[68:69], v[76:77]
	v_add_f64 v[240:241], v[48:49], v[68:69]
	v_fma_f64 v[68:69], v[212:213], s[28:29], -v[74:75]
	v_fma_f64 v[74:75], v[220:221], s[14:15], -v[230:231]
	;; [unrolled: 1-line block ×6, first 2 shown]
	v_add_f64 v[74:75], v[138:139], v[74:75]
	v_add_f64 v[70:71], v[70:71], v[74:75]
	;; [unrolled: 1-line block ×5, first 2 shown]
	v_fma_f64 v[46:47], v[2:3], s[10:11], -v[46:47]
	v_add_f64 v[48:49], v[48:49], v[50:51]
	v_fma_f64 v[42:43], v[0:1], s[22:23], -v[42:43]
	v_add_f64 v[46:47], v[46:47], v[48:49]
	v_fmac_f64_e32 v[84:85], s[14:15], v[18:19]
	v_add_f64 v[250:251], v[42:43], v[46:47]
	v_fmac_f64_e32 v[80:81], s[16:17], v[16:17]
	;; [unrolled: 2-line block ×3, first 2 shown]
	v_add_f64 v[42:43], v[80:81], v[42:43]
	v_mul_f64 v[82:83], v[22:23], s[46:47]
	v_fmac_f64_e32 v[244:245], s[12:13], v[10:11]
	v_add_f64 v[42:43], v[248:249], v[42:43]
	v_mul_f64 v[78:79], v[20:21], s[42:43]
	v_fma_f64 v[84:85], s[18:19], v[220:221], v[82:83]
	v_accvgpr_write_b32 a90, v108
	v_fmac_f64_e32 v[228:229], s[18:19], v[8:9]
	v_add_f64 v[42:43], v[244:245], v[42:43]
	v_mul_f64 v[74:75], v[12:13], s[26:27]
	v_fma_f64 v[80:81], s[10:11], v[216:217], v[78:79]
	v_add_f64 v[84:85], v[138:139], v[84:85]
	v_accvgpr_write_b32 a86, v104
	v_accvgpr_write_b32 a91, v109
	;; [unrolled: 1-line block ×4, first 2 shown]
	v_mul_f64 v[108:109], v[38:39], s[46:47]
	v_fmac_f64_e32 v[72:73], s[24:25], v[6:7]
	v_add_f64 v[42:43], v[228:229], v[42:43]
	v_mul_f64 v[70:71], v[226:227], s[34:35]
	v_fma_f64 v[76:77], s[16:17], v[212:213], v[74:75]
	v_add_f64 v[80:81], v[80:81], v[84:85]
	v_accvgpr_write_b32 a87, v105
	v_accvgpr_write_b32 a88, v106
	;; [unrolled: 1-line block ×3, first 2 shown]
	v_mul_f64 v[104:105], v[36:37], s[42:43]
	v_fma_f64 v[110:111], v[18:19], s[18:19], -v[108:109]
	v_add_f64 v[42:43], v[72:73], v[42:43]
	v_mul_f64 v[66:67], v[222:223], s[56:57]
	v_fma_f64 v[72:73], s[28:29], v[252:253], v[70:71]
	v_add_f64 v[76:77], v[76:77], v[80:81]
	v_mul_f64 v[230:231], v[34:35], s[26:27]
	v_fma_f64 v[106:107], v[16:17], s[10:11], -v[104:105]
	v_add_f64 v[110:111], v[136:137], v[110:111]
	v_fmac_f64_e32 v[64:65], s[10:11], v[4:5]
	v_mul_f64 v[50:51], v[218:219], s[52:53]
	v_fma_f64 v[68:69], s[22:23], v[210:211], v[66:67]
	v_add_f64 v[72:73], v[72:73], v[76:77]
	v_mul_f64 v[86:87], v[32:33], s[34:35]
	v_fma_f64 v[244:245], v[14:15], s[16:17], -v[230:231]
	v_add_f64 v[106:107], v[106:107], v[110:111]
	v_fmac_f64_e32 v[44:45], s[22:23], v[224:225]
	v_add_f64 v[42:43], v[64:65], v[42:43]
	v_mul_f64 v[46:47], v[214:215], s[36:37]
	v_fma_f64 v[64:65], s[12:13], v[208:209], v[50:51]
	v_add_f64 v[68:69], v[68:69], v[72:73]
	v_mul_f64 v[80:81], v[30:31], s[56:57]
	v_fma_f64 v[228:229], v[10:11], s[28:29], -v[86:87]
	v_add_f64 v[106:107], v[244:245], v[106:107]
	v_add_f64 v[248:249], v[44:45], v[42:43]
	v_mul_f64 v[42:43], v[254:255], s[38:39]
	v_fma_f64 v[48:49], s[14:15], v[2:3], v[46:47]
	v_add_f64 v[64:65], v[64:65], v[68:69]
	v_mul_f64 v[72:73], v[28:29], s[52:53]
	v_fma_f64 v[84:85], v[8:9], s[22:23], -v[80:81]
	v_add_f64 v[106:107], v[228:229], v[106:107]
	v_fma_f64 v[44:45], s[24:25], v[0:1], v[42:43]
	v_add_f64 v[48:49], v[48:49], v[64:65]
	v_mul_f64 v[64:65], v[26:27], s[36:37]
	v_fma_f64 v[76:77], v[6:7], s[12:13], -v[72:73]
	v_add_f64 v[84:85], v[84:85], v[106:107]
	v_add_f64 v[246:247], v[44:45], v[48:49]
	v_mul_f64 v[48:49], v[24:25], s[38:39]
	v_fma_f64 v[68:69], v[4:5], s[14:15], -v[64:65]
	v_add_f64 v[76:77], v[76:77], v[84:85]
	v_fma_f64 v[44:45], v[224:225], s[24:25], -v[48:49]
	v_add_f64 v[68:69], v[68:69], v[76:77]
	v_add_f64 v[244:245], v[44:45], v[68:69]
	v_fma_f64 v[68:69], v[212:213], s[16:17], -v[74:75]
	v_fma_f64 v[74:75], v[220:221], s[18:19], -v[82:83]
	;; [unrolled: 1-line block ×7, first 2 shown]
	v_add_f64 v[74:75], v[138:139], v[74:75]
	v_add_f64 v[70:71], v[70:71], v[74:75]
	v_add_f64 v[68:69], v[68:69], v[70:71]
	v_add_f64 v[66:67], v[66:67], v[68:69]
	v_add_f64 v[50:51], v[50:51], v[66:67]
	v_add_f64 v[46:47], v[46:47], v[50:51]
	v_fma_f64 v[42:43], v[0:1], s[24:25], -v[42:43]
	v_add_f64 v[44:45], v[44:45], v[46:47]
	v_fmac_f64_e32 v[108:109], s[18:19], v[18:19]
	v_add_f64 v[44:45], v[42:43], v[44:45]
	v_fmac_f64_e32 v[104:105], s[10:11], v[16:17]
	;; [unrolled: 2-line block ×5, first 2 shown]
	v_add_f64 v[42:43], v[86:87], v[42:43]
	v_mul_f64 v[82:83], v[22:23], s[40:41]
	v_add_f64 v[42:43], v[80:81], v[42:43]
	v_mul_f64 v[80:81], v[20:21], s[46:47]
	v_fma_f64 v[22:23], s[24:25], v[220:221], v[82:83]
	v_mul_f64 v[12:13], v[12:13], s[50:51]
	v_fma_f64 v[20:21], s[18:19], v[216:217], v[80:81]
	v_add_f64 v[22:23], v[138:139], v[22:23]
	v_mul_f64 v[74:75], v[226:227], s[42:43]
	v_fma_f64 v[78:79], s[14:15], v[212:213], v[12:13]
	v_add_f64 v[20:21], v[20:21], v[22:23]
	v_fmac_f64_e32 v[72:73], s[12:13], v[6:7]
	v_mul_f64 v[70:71], v[222:223], s[20:21]
	v_fma_f64 v[76:77], s[10:11], v[252:253], v[74:75]
	v_add_f64 v[20:21], v[78:79], v[20:21]
	v_add_f64 v[42:43], v[72:73], v[42:43]
	v_mul_f64 v[66:67], v[218:219], s[26:27]
	v_fma_f64 v[72:73], s[12:13], v[210:211], v[70:71]
	v_add_f64 v[20:21], v[76:77], v[20:21]
	v_fmac_f64_e32 v[64:65], s[14:15], v[4:5]
	v_mul_f64 v[50:51], v[214:215], s[30:31]
	v_fma_f64 v[68:69], s[16:17], v[208:209], v[66:67]
	v_add_f64 v[20:21], v[72:73], v[20:21]
	v_fmac_f64_e32 v[48:49], s[24:25], v[224:225]
	v_add_f64 v[42:43], v[64:65], v[42:43]
	v_mul_f64 v[46:47], v[254:255], s[34:35]
	v_fma_f64 v[64:65], s[22:23], v[2:3], v[50:51]
	v_add_f64 v[20:21], v[68:69], v[20:21]
	v_add_f64 v[42:43], v[48:49], v[42:43]
	v_fma_f64 v[48:49], s[28:29], v[0:1], v[46:47]
	v_add_f64 v[20:21], v[64:65], v[20:21]
	v_mul_f64 v[26:27], v[26:27], s[30:31]
	v_add_f64 v[22:23], v[48:49], v[20:21]
	v_fma_f64 v[48:49], v[4:5], s[22:23], -v[26:27]
	v_fmac_f64_e32 v[26:27], s[22:23], v[4:5]
	v_add_f64 v[4:5], v[138:139], v[142:143]
	v_add_f64 v[4:5], v[146:147], v[4:5]
	v_add_f64 v[4:5], v[150:151], v[4:5]
	v_add_f64 v[4:5], v[154:155], v[4:5]
	v_add_f64 v[4:5], v[158:159], v[4:5]
	v_add_f64 v[4:5], v[162:163], v[4:5]
	v_add_f64 v[4:5], v[166:167], v[4:5]
	v_add_f64 v[4:5], v[170:171], v[4:5]
	v_add_f64 v[4:5], v[174:175], v[4:5]
	v_mul_f64 v[38:39], v[38:39], s[40:41]
	v_add_f64 v[4:5], v[178:179], v[4:5]
	v_mul_f64 v[36:37], v[36:37], s[46:47]
	v_fma_f64 v[84:85], v[18:19], s[24:25], -v[38:39]
	v_add_f64 v[4:5], v[182:183], v[4:5]
	v_mul_f64 v[34:35], v[34:35], s[50:51]
	v_fma_f64 v[78:79], v[16:17], s[18:19], -v[36:37]
	v_add_f64 v[84:85], v[136:137], v[84:85]
	v_add_f64 v[4:5], v[186:187], v[4:5]
	v_mul_f64 v[32:33], v[32:33], s[42:43]
	v_fma_f64 v[76:77], v[14:15], s[14:15], -v[34:35]
	v_add_f64 v[78:79], v[78:79], v[84:85]
	;; [unrolled: 4-line block ×4, first 2 shown]
	v_add_f64 v[4:5], v[198:199], v[4:5]
	v_fma_f64 v[64:65], v[6:7], s[16:17], -v[28:29]
	v_add_f64 v[68:69], v[68:69], v[72:73]
	v_fmac_f64_e32 v[28:29], s[16:17], v[6:7]
	v_add_f64 v[6:7], v[114:115], v[4:5]
	v_add_f64 v[4:5], v[136:137], v[140:141]
	;; [unrolled: 1-line block ×3, first 2 shown]
	v_fma_f64 v[0:1], v[0:1], s[28:29], -v[46:47]
	v_fma_f64 v[46:47], v[208:209], s[16:17], -v[66:67]
	;; [unrolled: 1-line block ×3, first 2 shown]
	v_add_f64 v[4:5], v[144:145], v[4:5]
	v_add_f64 v[48:49], v[48:49], v[64:65]
	v_fma_f64 v[64:65], v[216:217], s[18:19], -v[80:81]
	v_add_f64 v[66:67], v[138:139], v[66:67]
	v_add_f64 v[4:5], v[148:149], v[4:5]
	v_mul_f64 v[24:25], v[24:25], s[34:35]
	v_fma_f64 v[12:13], v[212:213], s[14:15], -v[12:13]
	v_add_f64 v[64:65], v[64:65], v[66:67]
	v_add_f64 v[4:5], v[152:153], v[4:5]
	v_fma_f64 v[20:21], v[224:225], s[28:29], -v[24:25]
	v_fma_f64 v[2:3], v[2:3], s[22:23], -v[50:51]
	;; [unrolled: 1-line block ×3, first 2 shown]
	v_add_f64 v[12:13], v[12:13], v[64:65]
	v_add_f64 v[4:5], v[156:157], v[4:5]
	;; [unrolled: 1-line block ×3, first 2 shown]
	v_fma_f64 v[48:49], v[210:211], s[12:13], -v[70:71]
	v_add_f64 v[12:13], v[50:51], v[12:13]
	v_add_f64 v[4:5], v[160:161], v[4:5]
	;; [unrolled: 1-line block ×7, first 2 shown]
	v_fmac_f64_e32 v[38:39], s[24:25], v[18:19]
	v_add_f64 v[4:5], v[172:173], v[4:5]
	v_add_f64 v[2:3], v[0:1], v[2:3]
	v_fmac_f64_e32 v[36:37], s[18:19], v[16:17]
	v_add_f64 v[0:1], v[136:137], v[38:39]
	v_add_f64 v[4:5], v[176:177], v[4:5]
	;; [unrolled: 3-line block ×5, first 2 shown]
	v_accvgpr_read_b32 v252, a0
	v_add_f64 v[0:1], v[30:31], v[0:1]
	v_add_f64 v[4:5], v[192:193], v[4:5]
	;; [unrolled: 1-line block ×4, first 2 shown]
	v_mul_lo_u16_e32 v8, 17, v252
	v_accvgpr_read_b32 v9, a99
	v_fmac_f64_e32 v[24:25], s[28:29], v[224:225]
	v_add_f64 v[0:1], v[26:27], v[0:1]
	v_add_f64 v[4:5], v[112:113], v[4:5]
	v_lshl_add_u32 v8, v8, 4, v9
	v_accvgpr_read_b32 v111, a93
	v_accvgpr_read_b32 v107, a89
	;; [unrolled: 1-line block ×7, first 2 shown]
	v_add_f64 v[0:1], v[24:25], v[0:1]
	v_accvgpr_read_b32 v115, a97
	ds_write_b128 v8, v[4:7]
	ds_write_b128 v8, v[0:3] offset:16
	ds_write_b128 v8, v[42:45] offset:32
	;; [unrolled: 1-line block ×13, first 2 shown]
	v_accvgpr_read_b32 v237, a35
	v_accvgpr_read_b32 v233, a31
	ds_write_b128 v8, v[240:243] offset:224
	v_accvgpr_read_b32 v241, a39
	v_accvgpr_read_b32 v110, a92
	;; [unrolled: 1-line block ×44, first 2 shown]
	ds_write_b128 v8, v[244:247] offset:240
	v_accvgpr_read_b32 v245, a5
	v_accvgpr_read_b32 v246, a4
	;; [unrolled: 1-line block ×3, first 2 shown]
	ds_write_b128 v8, v[20:23] offset:256
.LBB0_13:
	s_or_b64 exec, exec, s[0:1]
	s_waitcnt lgkmcnt(0)
	s_barrier
	ds_read_b128 v[0:3], v40
	ds_read_b128 v[4:7], v40 offset:1088
	ds_read_b128 v[8:11], v40 offset:4352
	;; [unrolled: 1-line block ×15, first 2 shown]
	s_waitcnt lgkmcnt(13)
	v_mul_f64 v[46:47], v[216:217], v[10:11]
	v_fmac_f64_e32 v[46:47], v[214:215], v[8:9]
	v_mul_f64 v[8:9], v[216:217], v[8:9]
	v_fma_f64 v[8:9], v[214:215], v[10:11], -v[8:9]
	s_waitcnt lgkmcnt(11)
	v_mul_f64 v[10:11], v[212:213], v[18:19]
	v_fmac_f64_e32 v[10:11], v[210:211], v[16:17]
	v_mul_f64 v[16:17], v[212:213], v[16:17]
	v_fma_f64 v[16:17], v[210:211], v[18:19], -v[16:17]
	;; [unrolled: 5-line block ×3, first 2 shown]
	v_mul_f64 v[26:27], v[232:233], v[14:15]
	v_fmac_f64_e32 v[26:27], v[230:231], v[12:13]
	v_mul_f64 v[12:13], v[232:233], v[12:13]
	v_fma_f64 v[48:49], v[230:231], v[14:15], -v[12:13]
	v_mul_f64 v[50:51], v[228:229], v[22:23]
	v_mul_f64 v[12:13], v[228:229], v[20:21]
	v_fmac_f64_e32 v[50:51], v[226:227], v[20:21]
	v_fma_f64 v[20:21], v[226:227], v[22:23], -v[12:13]
	s_waitcnt lgkmcnt(8)
	v_mul_f64 v[22:23], v[220:221], v[30:31]
	v_mul_f64 v[12:13], v[220:221], v[28:29]
	v_fmac_f64_e32 v[22:23], v[218:219], v[28:29]
	v_fma_f64 v[28:29], v[218:219], v[30:31], -v[12:13]
	s_waitcnt lgkmcnt(5)
	v_mul_f64 v[64:65], v[240:241], v[44:45]
	v_mul_f64 v[12:13], v[240:241], v[42:43]
	v_accvgpr_read_b32 v73, a43
	v_fmac_f64_e32 v[64:65], v[238:239], v[42:43]
	v_fma_f64 v[42:43], v[238:239], v[44:45], -v[12:13]
	s_waitcnt lgkmcnt(3)
	v_mul_f64 v[12:13], v[236:237], v[140:141]
	v_accvgpr_read_b32 v72, a42
	v_accvgpr_read_b32 v77, a55
	v_fma_f64 v[66:67], v[234:235], v[142:143], -v[12:13]
	v_accvgpr_read_b32 v71, a41
	v_accvgpr_read_b32 v70, a40
	s_waitcnt lgkmcnt(1)
	v_mul_f64 v[68:69], v[72:73], v[150:151]
	v_mul_f64 v[12:13], v[72:73], v[148:149]
	v_accvgpr_read_b32 v76, a54
	v_accvgpr_read_b32 v81, a51
	v_fmac_f64_e32 v[68:69], v[70:71], v[148:149]
	v_fma_f64 v[70:71], v[70:71], v[150:151], -v[12:13]
	v_accvgpr_read_b32 v75, a53
	v_accvgpr_read_b32 v74, a52
	v_mul_f64 v[72:73], v[76:77], v[138:139]
	v_mul_f64 v[12:13], v[76:77], v[136:137]
	v_accvgpr_read_b32 v80, a50
	v_accvgpr_read_b32 v85, a47
	v_fmac_f64_e32 v[72:73], v[74:75], v[136:137]
	v_fma_f64 v[74:75], v[74:75], v[138:139], -v[12:13]
	v_accvgpr_read_b32 v79, a49
	v_accvgpr_read_b32 v78, a48
	v_mul_f64 v[76:77], v[80:81], v[146:147]
	v_mul_f64 v[12:13], v[80:81], v[144:145]
	v_accvgpr_read_b32 v84, a46
	v_fmac_f64_e32 v[76:77], v[78:79], v[144:145]
	v_fma_f64 v[78:79], v[78:79], v[146:147], -v[12:13]
	v_accvgpr_read_b32 v83, a45
	v_accvgpr_read_b32 v82, a44
	s_waitcnt lgkmcnt(0)
	v_mul_f64 v[80:81], v[84:85], v[154:155]
	v_mul_f64 v[12:13], v[84:85], v[152:153]
	v_add_f64 v[30:31], v[0:1], -v[10:11]
	v_add_f64 v[84:85], v[2:3], -v[16:17]
	;; [unrolled: 1-line block ×4, first 2 shown]
	v_fmac_f64_e32 v[80:81], v[82:83], v[152:153]
	v_fma_f64 v[82:83], v[82:83], v[154:155], -v[12:13]
	v_fma_f64 v[10:11], v[0:1], 2.0, -v[30:31]
	v_fma_f64 v[12:13], v[2:3], 2.0, -v[84:85]
	;; [unrolled: 1-line block ×4, first 2 shown]
	v_add_f64 v[0:1], v[10:11], -v[0:1]
	v_add_f64 v[2:3], v[12:13], -v[2:3]
	;; [unrolled: 1-line block ×4, first 2 shown]
	v_fma_f64 v[8:9], v[10:11], 2.0, -v[0:1]
	v_fma_f64 v[10:11], v[12:13], 2.0, -v[2:3]
	v_add_f64 v[12:13], v[30:31], v[16:17]
	v_fma_f64 v[24:25], v[6:7], 2.0, -v[46:47]
	v_fma_f64 v[6:7], v[48:49], 2.0, -v[28:29]
	v_mul_f64 v[44:45], v[236:237], v[142:143]
	v_fma_f64 v[16:17], v[30:31], 2.0, -v[12:13]
	v_add_f64 v[30:31], v[4:5], -v[50:51]
	v_add_f64 v[50:51], v[26:27], -v[22:23]
	;; [unrolled: 1-line block ×3, first 2 shown]
	v_fmac_f64_e32 v[44:45], v[234:235], v[140:141]
	v_fma_f64 v[20:21], v[4:5], 2.0, -v[30:31]
	v_fma_f64 v[4:5], v[26:27], 2.0, -v[50:51]
	;; [unrolled: 1-line block ×3, first 2 shown]
	v_add_f64 v[24:25], v[30:31], v[28:29]
	v_add_f64 v[26:27], v[46:47], -v[50:51]
	v_fma_f64 v[28:29], v[30:31], 2.0, -v[24:25]
	v_fma_f64 v[30:31], v[46:47], 2.0, -v[26:27]
	v_add_f64 v[46:47], v[32:33], -v[44:45]
	v_add_f64 v[66:67], v[34:35], -v[66:67]
	;; [unrolled: 1-line block ×4, first 2 shown]
	v_fma_f64 v[44:45], v[32:33], 2.0, -v[46:47]
	v_fma_f64 v[48:49], v[34:35], 2.0, -v[66:67]
	;; [unrolled: 1-line block ×4, first 2 shown]
	v_add_f64 v[32:33], v[44:45], -v[32:33]
	v_add_f64 v[34:35], v[48:49], -v[34:35]
	v_fma_f64 v[42:43], v[44:45], 2.0, -v[32:33]
	v_fma_f64 v[44:45], v[48:49], 2.0, -v[34:35]
	v_add_f64 v[48:49], v[46:47], v[68:69]
	v_add_f64 v[50:51], v[66:67], -v[50:51]
	v_fma_f64 v[136:137], v[46:47], 2.0, -v[48:49]
	v_add_f64 v[46:47], v[36:37], -v[76:77]
	v_add_f64 v[64:65], v[38:39], -v[78:79]
	;; [unrolled: 1-line block ×4, first 2 shown]
	v_fma_f64 v[138:139], v[66:67], 2.0, -v[50:51]
	v_fma_f64 v[66:67], v[36:37], 2.0, -v[46:47]
	;; [unrolled: 1-line block ×5, first 2 shown]
	v_add_f64 v[14:15], v[84:85], -v[14:15]
	v_add_f64 v[4:5], v[20:21], -v[4:5]
	;; [unrolled: 1-line block ×4, first 2 shown]
	v_add_f64 v[144:145], v[46:47], v[76:77]
	v_add_f64 v[146:147], v[64:65], -v[70:71]
	v_fma_f64 v[18:19], v[84:85], 2.0, -v[14:15]
	v_fma_f64 v[20:21], v[20:21], 2.0, -v[4:5]
	;; [unrolled: 1-line block ×6, first 2 shown]
	s_barrier
	ds_write_b128 v86, v[8:11]
	ds_write_b128 v86, v[16:19] offset:272
	ds_write_b128 v86, v[0:3] offset:544
	ds_write_b128 v86, v[12:15] offset:816
	ds_write_b128 v87, v[20:23]
	ds_write_b128 v87, v[28:31] offset:272
	ds_write_b128 v87, v[4:7] offset:544
	ds_write_b128 v87, v[24:27] offset:816
	;; [unrolled: 4-line block ×4, first 2 shown]
	s_waitcnt lgkmcnt(0)
	s_barrier
	ds_read_b128 v[0:3], v40
	ds_read_b128 v[4:7], v40 offset:1088
	ds_read_b128 v[8:11], v40 offset:4352
	;; [unrolled: 1-line block ×15, first 2 shown]
	s_waitcnt lgkmcnt(13)
	v_mul_f64 v[46:47], v[62:63], v[10:11]
	v_fmac_f64_e32 v[46:47], v[60:61], v[8:9]
	v_mul_f64 v[8:9], v[62:63], v[8:9]
	v_fma_f64 v[8:9], v[60:61], v[10:11], -v[8:9]
	s_waitcnt lgkmcnt(11)
	v_mul_f64 v[10:11], v[58:59], v[18:19]
	v_fmac_f64_e32 v[10:11], v[56:57], v[16:17]
	v_mul_f64 v[16:17], v[58:59], v[16:17]
	v_fma_f64 v[16:17], v[56:57], v[18:19], -v[16:17]
	;; [unrolled: 5-line block ×3, first 2 shown]
	v_mul_f64 v[26:27], v[62:63], v[14:15]
	v_fmac_f64_e32 v[26:27], v[60:61], v[12:13]
	v_mul_f64 v[12:13], v[62:63], v[12:13]
	v_fma_f64 v[60:61], v[60:61], v[14:15], -v[12:13]
	v_mul_f64 v[62:63], v[58:59], v[22:23]
	v_mul_f64 v[12:13], v[58:59], v[20:21]
	v_fmac_f64_e32 v[62:63], v[56:57], v[20:21]
	v_fma_f64 v[20:21], v[56:57], v[22:23], -v[12:13]
	s_waitcnt lgkmcnt(8)
	v_mul_f64 v[22:23], v[54:55], v[30:31]
	v_mul_f64 v[12:13], v[54:55], v[28:29]
	v_accvgpr_read_b32 v54, a68
	v_accvgpr_read_b32 v56, a70
	v_accvgpr_read_b32 v57, a71
	v_fmac_f64_e32 v[22:23], v[52:53], v[28:29]
	v_fma_f64 v[28:29], v[52:53], v[30:31], -v[12:13]
	v_accvgpr_read_b32 v55, a69
	s_waitcnt lgkmcnt(5)
	v_mul_f64 v[52:53], v[56:57], v[44:45]
	v_mul_f64 v[12:13], v[56:57], v[42:43]
	v_fmac_f64_e32 v[52:53], v[54:55], v[42:43]
	v_fma_f64 v[42:43], v[54:55], v[44:45], -v[12:13]
	v_accvgpr_read_b32 v54, a64
	v_accvgpr_read_b32 v56, a66
	;; [unrolled: 1-line block ×5, first 2 shown]
	s_waitcnt lgkmcnt(3)
	v_mul_f64 v[44:45], v[56:57], v[138:139]
	v_mul_f64 v[12:13], v[56:57], v[136:137]
	v_accvgpr_read_b32 v66, a62
	v_fmac_f64_e32 v[44:45], v[54:55], v[136:137]
	v_fma_f64 v[54:55], v[54:55], v[138:139], -v[12:13]
	s_waitcnt lgkmcnt(1)
	v_mul_f64 v[56:57], v[66:67], v[146:147]
	v_mul_f64 v[12:13], v[66:67], v[144:145]
	v_accvgpr_read_b32 v66, a80
	v_accvgpr_read_b32 v65, a61
	;; [unrolled: 1-line block ×5, first 2 shown]
	v_fmac_f64_e32 v[56:57], v[64:65], v[144:145]
	v_fma_f64 v[58:59], v[64:65], v[146:147], -v[12:13]
	v_accvgpr_read_b32 v67, a81
	v_mul_f64 v[64:65], v[68:69], v[50:51]
	v_mul_f64 v[12:13], v[68:69], v[48:49]
	v_fmac_f64_e32 v[64:65], v[66:67], v[48:49]
	v_fma_f64 v[66:67], v[66:67], v[50:51], -v[12:13]
	v_accvgpr_read_b32 v48, a76
	v_accvgpr_read_b32 v50, a78
	;; [unrolled: 1-line block ×4, first 2 shown]
	v_mul_f64 v[68:69], v[50:51], v[142:143]
	v_mul_f64 v[12:13], v[50:51], v[140:141]
	v_fmac_f64_e32 v[68:69], v[48:49], v[140:141]
	v_fma_f64 v[70:71], v[48:49], v[142:143], -v[12:13]
	v_accvgpr_read_b32 v48, a72
	v_accvgpr_read_b32 v50, a74
	;; [unrolled: 1-line block ×4, first 2 shown]
	s_waitcnt lgkmcnt(0)
	v_mul_f64 v[72:73], v[50:51], v[150:151]
	v_mul_f64 v[12:13], v[50:51], v[148:149]
	v_fmac_f64_e32 v[72:73], v[48:49], v[148:149]
	v_fma_f64 v[74:75], v[48:49], v[150:151], -v[12:13]
	v_add_f64 v[30:31], v[0:1], -v[10:11]
	v_add_f64 v[48:49], v[2:3], -v[16:17]
	;; [unrolled: 1-line block ×4, first 2 shown]
	v_fma_f64 v[10:11], v[0:1], 2.0, -v[30:31]
	v_fma_f64 v[12:13], v[2:3], 2.0, -v[48:49]
	;; [unrolled: 1-line block ×4, first 2 shown]
	v_add_f64 v[0:1], v[10:11], -v[0:1]
	v_add_f64 v[2:3], v[12:13], -v[2:3]
	;; [unrolled: 1-line block ×4, first 2 shown]
	v_fma_f64 v[8:9], v[10:11], 2.0, -v[0:1]
	v_fma_f64 v[10:11], v[12:13], 2.0, -v[2:3]
	v_add_f64 v[12:13], v[30:31], v[16:17]
	v_add_f64 v[14:15], v[48:49], -v[14:15]
	v_fma_f64 v[24:25], v[6:7], 2.0, -v[46:47]
	v_fma_f64 v[6:7], v[60:61], 2.0, -v[28:29]
	;; [unrolled: 1-line block ×4, first 2 shown]
	v_add_f64 v[30:31], v[4:5], -v[62:63]
	v_add_f64 v[48:49], v[26:27], -v[22:23]
	v_add_f64 v[6:7], v[24:25], -v[6:7]
	v_fma_f64 v[20:21], v[4:5], 2.0, -v[30:31]
	v_fma_f64 v[4:5], v[26:27], 2.0, -v[48:49]
	;; [unrolled: 1-line block ×3, first 2 shown]
	v_add_f64 v[24:25], v[30:31], v[28:29]
	v_add_f64 v[26:27], v[46:47], -v[48:49]
	v_fma_f64 v[28:29], v[30:31], 2.0, -v[24:25]
	v_fma_f64 v[30:31], v[46:47], 2.0, -v[26:27]
	v_add_f64 v[46:47], v[32:33], -v[44:45]
	v_add_f64 v[54:55], v[34:35], -v[54:55]
	;; [unrolled: 1-line block ×4, first 2 shown]
	v_fma_f64 v[44:45], v[32:33], 2.0, -v[46:47]
	v_fma_f64 v[48:49], v[34:35], 2.0, -v[54:55]
	;; [unrolled: 1-line block ×4, first 2 shown]
	v_add_f64 v[32:33], v[44:45], -v[32:33]
	v_add_f64 v[34:35], v[48:49], -v[34:35]
	v_fma_f64 v[42:43], v[44:45], 2.0, -v[32:33]
	v_fma_f64 v[44:45], v[48:49], 2.0, -v[34:35]
	v_add_f64 v[48:49], v[46:47], v[56:57]
	v_fma_f64 v[52:53], v[46:47], 2.0, -v[48:49]
	v_add_f64 v[46:47], v[36:37], -v[68:69]
	v_add_f64 v[68:69], v[38:39], -v[70:71]
	;; [unrolled: 1-line block ×4, first 2 shown]
	v_fma_f64 v[56:57], v[36:37], 2.0, -v[46:47]
	v_fma_f64 v[58:59], v[38:39], 2.0, -v[68:69]
	;; [unrolled: 1-line block ×4, first 2 shown]
	v_add_f64 v[4:5], v[20:21], -v[4:5]
	v_add_f64 v[50:51], v[54:55], -v[50:51]
	;; [unrolled: 1-line block ×4, first 2 shown]
	v_add_f64 v[60:61], v[46:47], v[60:61]
	v_add_f64 v[62:63], v[68:69], -v[62:63]
	v_fma_f64 v[20:21], v[20:21], 2.0, -v[4:5]
	v_fma_f64 v[54:55], v[54:55], 2.0, -v[50:51]
	;; [unrolled: 1-line block ×6, first 2 shown]
	s_barrier
	ds_write_b128 v40, v[8:11]
	ds_write_b128 v40, v[16:19] offset:1088
	ds_write_b128 v40, v[0:3] offset:2176
	;; [unrolled: 1-line block ×11, first 2 shown]
	v_accvgpr_read_b32 v0, a84
	ds_write_b128 v0, v[56:59] offset:13056
	ds_write_b128 v0, v[64:67] offset:14144
	;; [unrolled: 1-line block ×4, first 2 shown]
	s_waitcnt lgkmcnt(0)
	s_barrier
	ds_read_b128 v[0:3], v40
	ds_read_b128 v[4:7], v40 offset:1088
	ds_read_b128 v[8:11], v40 offset:8704
	;; [unrolled: 1-line block ×15, first 2 shown]
	s_waitcnt lgkmcnt(13)
	v_mul_f64 v[66:67], v[90:91], v[10:11]
	v_fmac_f64_e32 v[66:67], v[88:89], v[8:9]
	v_mul_f64 v[8:9], v[90:91], v[8:9]
	v_fma_f64 v[10:11], v[88:89], v[10:11], -v[8:9]
	s_waitcnt lgkmcnt(12)
	v_mul_f64 v[8:9], v[94:95], v[12:13]
	v_mul_f64 v[68:69], v[94:95], v[14:15]
	v_fma_f64 v[14:15], v[92:93], v[14:15], -v[8:9]
	s_waitcnt lgkmcnt(9)
	v_mul_f64 v[8:9], v[98:99], v[24:25]
	;; [unrolled: 4-line block ×7, first 2 shown]
	v_mul_f64 v[8:9], v[102:103], v[62:63]
	v_fmac_f64_e32 v[68:69], v[92:93], v[12:13]
	v_fmac_f64_e32 v[70:71], v[96:97], v[24:25]
	;; [unrolled: 1-line block ×7, first 2 shown]
	v_fma_f64 v[64:65], v[100:101], v[64:65], -v[8:9]
	v_add_f64 v[8:9], v[0:1], -v[66:67]
	v_add_f64 v[10:11], v[2:3], -v[10:11]
	;; [unrolled: 1-line block ×16, first 2 shown]
	v_fma_f64 v[0:1], v[0:1], 2.0, -v[8:9]
	v_fma_f64 v[2:3], v[2:3], 2.0, -v[10:11]
	;; [unrolled: 1-line block ×16, first 2 shown]
	s_barrier
	ds_write_b128 v40, v[0:3]
	ds_write_b128 v40, v[8:11] offset:4352
	ds_write_b128 v40, v[4:7] offset:1088
	;; [unrolled: 1-line block ×15, first 2 shown]
	s_waitcnt lgkmcnt(0)
	s_barrier
	ds_read_b128 v[0:3], v40
	ds_read_b128 v[4:7], v40 offset:1088
	ds_read_b128 v[8:11], v40 offset:8704
	;; [unrolled: 1-line block ×15, first 2 shown]
	s_waitcnt lgkmcnt(13)
	v_mul_f64 v[66:67], v[106:107], v[10:11]
	v_fmac_f64_e32 v[66:67], v[104:105], v[8:9]
	v_mul_f64 v[8:9], v[106:107], v[8:9]
	v_fma_f64 v[10:11], v[104:105], v[10:11], -v[8:9]
	s_waitcnt lgkmcnt(12)
	v_mul_f64 v[8:9], v[110:111], v[12:13]
	v_mul_f64 v[68:69], v[110:111], v[14:15]
	v_fma_f64 v[14:15], v[108:109], v[14:15], -v[8:9]
	s_waitcnt lgkmcnt(9)
	v_mul_f64 v[8:9], v[114:115], v[24:25]
	;; [unrolled: 4-line block ×7, first 2 shown]
	v_mul_f64 v[8:9], v[134:135], v[62:63]
	v_fmac_f64_e32 v[68:69], v[108:109], v[12:13]
	v_fmac_f64_e32 v[70:71], v[112:113], v[24:25]
	;; [unrolled: 1-line block ×7, first 2 shown]
	v_fma_f64 v[64:65], v[132:133], v[64:65], -v[8:9]
	v_add_f64 v[8:9], v[0:1], -v[66:67]
	v_add_f64 v[10:11], v[2:3], -v[10:11]
	v_fma_f64 v[0:1], v[0:1], 2.0, -v[8:9]
	v_fma_f64 v[2:3], v[2:3], 2.0, -v[10:11]
	v_add_f64 v[12:13], v[4:5], -v[68:69]
	v_add_f64 v[14:15], v[6:7], -v[14:15]
	;; [unrolled: 1-line block ×14, first 2 shown]
	v_fma_f64 v[4:5], v[4:5], 2.0, -v[12:13]
	v_fma_f64 v[6:7], v[6:7], 2.0, -v[14:15]
	;; [unrolled: 1-line block ×14, first 2 shown]
	ds_write_b128 v41, v[0:3]
	ds_write_b128 v41, v[8:11] offset:8704
	ds_write_b128 v41, v[4:7] offset:1088
	;; [unrolled: 1-line block ×15, first 2 shown]
	s_waitcnt lgkmcnt(0)
	s_barrier
	s_and_b64 exec, exec, vcc
	s_cbranch_execz .LBB0_15
; %bb.14:
	global_load_dwordx4 v[2:5], v242, s[2:3]
	v_mad_u64_u32 v[10:11], s[0:1], s6, v246, 0
	ds_read_b128 v[6:9], v245
	v_mov_b32_e32 v0, s8
	v_mov_b32_e32 v1, s9
	v_mad_u64_u32 v[12:13], s[8:9], s4, v252, 0
	v_mov_b32_e32 v14, v11
	v_mov_b32_e32 v16, v13
	v_mad_u64_u32 v[14:15], s[6:7], s7, v246, v[14:15]
	v_mad_u64_u32 v[16:17], s[6:7], s5, v252, v[16:17]
	v_mov_b32_e32 v11, v14
	v_mov_b32_e32 v13, v16
	v_lshl_add_u64 v[0:1], v[10:11], 4, v[0:1]
	s_mov_b32 s0, 0x1e1e1e1e
	v_lshl_add_u64 v[10:11], v[12:13], 4, v[0:1]
	s_mov_b32 s1, 0x3f4e1e1e
	v_mad_u64_u32 v[16:17], s[6:7], s4, v243, 0
	v_mov_b32_e32 v18, v17
	v_mad_u64_u32 v[18:19], s[6:7], s5, v243, v[18:19]
	v_mov_b32_e32 v17, v18
	v_lshl_add_u64 v[16:17], v[16:17], 4, v[0:1]
	v_or_b32_e32 v20, 0x100, v252
	v_lshlrev_b32_e32 v21, 4, v20
	s_waitcnt vmcnt(0) lgkmcnt(0)
	v_mul_f64 v[12:13], v[8:9], v[4:5]
	v_mul_f64 v[4:5], v[6:7], v[4:5]
	v_fmac_f64_e32 v[12:13], v[6:7], v[2:3]
	v_fma_f64 v[4:5], v[2:3], v[8:9], -v[4:5]
	v_mul_f64 v[2:3], v[12:13], s[0:1]
	v_mul_f64 v[4:5], v[4:5], s[0:1]
	global_store_dwordx4 v[10:11], v[2:5], off
	global_load_dwordx4 v[4:7], v242, s[2:3] offset:1024
	s_nop 0
	v_lshl_add_u32 v2, v244, 4, v208
	ds_read_b128 v[8:11], v2 offset:1024
	ds_read_b128 v[12:15], v2 offset:2048
	v_or_b32_e32 v3, 0x80, v252
	s_waitcnt vmcnt(0) lgkmcnt(1)
	v_mul_f64 v[18:19], v[10:11], v[6:7]
	v_mul_f64 v[6:7], v[8:9], v[6:7]
	v_fmac_f64_e32 v[18:19], v[8:9], v[4:5]
	v_fma_f64 v[6:7], v[4:5], v[10:11], -v[6:7]
	v_mul_f64 v[4:5], v[18:19], s[0:1]
	v_mul_f64 v[6:7], v[6:7], s[0:1]
	global_store_dwordx4 v[16:17], v[4:7], off
	global_load_dwordx4 v[4:7], v242, s[2:3] offset:2048
	v_mad_u64_u32 v[8:9], s[6:7], s4, v3, 0
	v_mov_b32_e32 v10, v9
	v_mad_u64_u32 v[10:11], s[6:7], s5, v3, v[10:11]
	v_mov_b32_e32 v9, v10
	v_lshl_add_u64 v[8:9], v[8:9], 4, v[0:1]
	v_or_b32_e32 v3, 0xc0, v252
	v_mad_u64_u32 v[16:17], s[6:7], s4, v3, 0
	v_mov_b32_e32 v18, v17
	v_mad_u64_u32 v[18:19], s[6:7], s5, v3, v[18:19]
	v_mov_b32_e32 v17, v18
	v_lshl_add_u64 v[16:17], v[16:17], 4, v[0:1]
	v_or_b32_e32 v3, 0x140, v252
	s_waitcnt vmcnt(0) lgkmcnt(0)
	v_mul_f64 v[10:11], v[14:15], v[6:7]
	v_mul_f64 v[6:7], v[12:13], v[6:7]
	v_fmac_f64_e32 v[10:11], v[12:13], v[4:5]
	v_fma_f64 v[6:7], v[4:5], v[14:15], -v[6:7]
	v_mul_f64 v[4:5], v[10:11], s[0:1]
	v_mul_f64 v[6:7], v[6:7], s[0:1]
	global_store_dwordx4 v[8:9], v[4:7], off
	global_load_dwordx4 v[4:7], v242, s[2:3] offset:3072
	ds_read_b128 v[8:11], v2 offset:3072
	ds_read_b128 v[12:15], v2 offset:4096
	s_waitcnt vmcnt(0) lgkmcnt(1)
	v_mul_f64 v[18:19], v[10:11], v[6:7]
	v_mul_f64 v[6:7], v[8:9], v[6:7]
	v_fmac_f64_e32 v[18:19], v[8:9], v[4:5]
	v_fma_f64 v[6:7], v[4:5], v[10:11], -v[6:7]
	v_mul_f64 v[4:5], v[18:19], s[0:1]
	v_mul_f64 v[6:7], v[6:7], s[0:1]
	global_store_dwordx4 v[16:17], v[4:7], off
	global_load_dwordx4 v[4:7], v21, s[2:3]
	v_mad_u64_u32 v[8:9], s[6:7], s4, v20, 0
	v_mov_b32_e32 v10, v9
	v_mad_u64_u32 v[10:11], s[6:7], s5, v20, v[10:11]
	v_mov_b32_e32 v9, v10
	v_lshl_add_u64 v[8:9], v[8:9], 4, v[0:1]
	v_lshlrev_b32_e32 v16, 4, v3
	v_or_b32_e32 v20, 0x180, v252
	v_lshlrev_b32_e32 v21, 4, v20
	s_waitcnt vmcnt(0) lgkmcnt(0)
	v_mul_f64 v[10:11], v[14:15], v[6:7]
	v_mul_f64 v[6:7], v[12:13], v[6:7]
	v_fmac_f64_e32 v[10:11], v[12:13], v[4:5]
	v_fma_f64 v[6:7], v[4:5], v[14:15], -v[6:7]
	v_mul_f64 v[4:5], v[10:11], s[0:1]
	v_mul_f64 v[6:7], v[6:7], s[0:1]
	global_store_dwordx4 v[8:9], v[4:7], off
	global_load_dwordx4 v[4:7], v16, s[2:3]
	ds_read_b128 v[8:11], v2 offset:5120
	ds_read_b128 v[12:15], v2 offset:6144
	v_mad_u64_u32 v[16:17], s[6:7], s4, v3, 0
	v_mov_b32_e32 v18, v17
	v_mad_u64_u32 v[18:19], s[6:7], s5, v3, v[18:19]
	v_mov_b32_e32 v17, v18
	v_lshl_add_u64 v[16:17], v[16:17], 4, v[0:1]
	v_or_b32_e32 v3, 0x1c0, v252
	s_waitcnt vmcnt(0) lgkmcnt(1)
	v_mul_f64 v[18:19], v[10:11], v[6:7]
	v_mul_f64 v[6:7], v[8:9], v[6:7]
	v_fmac_f64_e32 v[18:19], v[8:9], v[4:5]
	v_fma_f64 v[6:7], v[4:5], v[10:11], -v[6:7]
	v_mul_f64 v[4:5], v[18:19], s[0:1]
	v_mul_f64 v[6:7], v[6:7], s[0:1]
	global_store_dwordx4 v[16:17], v[4:7], off
	global_load_dwordx4 v[4:7], v21, s[2:3]
	v_mad_u64_u32 v[8:9], s[6:7], s4, v20, 0
	v_mov_b32_e32 v10, v9
	v_mad_u64_u32 v[10:11], s[6:7], s5, v20, v[10:11]
	v_mov_b32_e32 v9, v10
	v_lshl_add_u64 v[8:9], v[8:9], 4, v[0:1]
	v_lshlrev_b32_e32 v16, 4, v3
	v_or_b32_e32 v20, 0x200, v252
	v_lshlrev_b32_e32 v21, 4, v20
	s_waitcnt vmcnt(0) lgkmcnt(0)
	v_mul_f64 v[10:11], v[14:15], v[6:7]
	v_mul_f64 v[6:7], v[12:13], v[6:7]
	v_fmac_f64_e32 v[10:11], v[12:13], v[4:5]
	v_fma_f64 v[6:7], v[4:5], v[14:15], -v[6:7]
	v_mul_f64 v[4:5], v[10:11], s[0:1]
	v_mul_f64 v[6:7], v[6:7], s[0:1]
	global_store_dwordx4 v[8:9], v[4:7], off
	global_load_dwordx4 v[4:7], v16, s[2:3]
	ds_read_b128 v[8:11], v2 offset:7168
	ds_read_b128 v[12:15], v2 offset:8192
	v_mad_u64_u32 v[16:17], s[6:7], s4, v3, 0
	v_mov_b32_e32 v18, v17
	v_mad_u64_u32 v[18:19], s[6:7], s5, v3, v[18:19]
	v_mov_b32_e32 v17, v18
	v_lshl_add_u64 v[16:17], v[16:17], 4, v[0:1]
	v_or_b32_e32 v3, 0x240, v252
	;; [unrolled: 34-line block ×5, first 2 shown]
	s_waitcnt vmcnt(0) lgkmcnt(1)
	v_mul_f64 v[18:19], v[10:11], v[6:7]
	v_mul_f64 v[6:7], v[8:9], v[6:7]
	v_fmac_f64_e32 v[18:19], v[8:9], v[4:5]
	v_fma_f64 v[6:7], v[4:5], v[10:11], -v[6:7]
	v_mul_f64 v[4:5], v[18:19], s[0:1]
	v_mul_f64 v[6:7], v[6:7], s[0:1]
	global_store_dwordx4 v[16:17], v[4:7], off
	global_load_dwordx4 v[4:7], v21, s[2:3]
	v_mad_u64_u32 v[8:9], s[6:7], s4, v20, 0
	v_mov_b32_e32 v10, v9
	v_mad_u64_u32 v[10:11], s[6:7], s5, v20, v[10:11]
	v_mov_b32_e32 v9, v10
	v_lshl_add_u64 v[8:9], v[8:9], 4, v[0:1]
	v_lshlrev_b32_e32 v16, 4, v3
	v_or_b32_e32 v18, 0x400, v252
	v_lshlrev_b32_e32 v19, 4, v18
	s_waitcnt vmcnt(0) lgkmcnt(0)
	v_mul_f64 v[10:11], v[14:15], v[6:7]
	v_mul_f64 v[6:7], v[12:13], v[6:7]
	v_fmac_f64_e32 v[10:11], v[12:13], v[4:5]
	v_fma_f64 v[6:7], v[4:5], v[14:15], -v[6:7]
	v_mul_f64 v[4:5], v[10:11], s[0:1]
	v_mul_f64 v[6:7], v[6:7], s[0:1]
	global_store_dwordx4 v[8:9], v[4:7], off
	global_load_dwordx4 v[4:7], v16, s[2:3]
	ds_read_b128 v[8:11], v2 offset:15360
	ds_read_b128 v[12:15], v2 offset:16384
	v_mad_u64_u32 v[16:17], s[6:7], s4, v3, 0
	v_mov_b32_e32 v2, v17
	v_mad_u64_u32 v[2:3], s[6:7], s5, v3, v[2:3]
	v_mov_b32_e32 v17, v2
	v_lshl_add_u64 v[16:17], v[16:17], 4, v[0:1]
	s_waitcnt vmcnt(0) lgkmcnt(1)
	v_mul_f64 v[2:3], v[10:11], v[6:7]
	v_mul_f64 v[6:7], v[8:9], v[6:7]
	v_fmac_f64_e32 v[2:3], v[8:9], v[4:5]
	v_fma_f64 v[4:5], v[4:5], v[10:11], -v[6:7]
	v_mul_f64 v[2:3], v[2:3], s[0:1]
	v_mul_f64 v[4:5], v[4:5], s[0:1]
	global_store_dwordx4 v[16:17], v[2:5], off
	global_load_dwordx4 v[2:5], v19, s[2:3]
	v_mad_u64_u32 v[6:7], s[2:3], s4, v18, 0
	v_mov_b32_e32 v8, v7
	v_mad_u64_u32 v[8:9], s[2:3], s5, v18, v[8:9]
	v_mov_b32_e32 v7, v8
	v_lshl_add_u64 v[0:1], v[6:7], 4, v[0:1]
	s_waitcnt vmcnt(0) lgkmcnt(0)
	v_mul_f64 v[8:9], v[14:15], v[4:5]
	v_mul_f64 v[4:5], v[12:13], v[4:5]
	v_fmac_f64_e32 v[8:9], v[12:13], v[2:3]
	v_fma_f64 v[4:5], v[2:3], v[14:15], -v[4:5]
	v_mul_f64 v[2:3], v[8:9], s[0:1]
	v_mul_f64 v[4:5], v[4:5], s[0:1]
	global_store_dwordx4 v[0:1], v[2:5], off
.LBB0_15:
	s_endpgm
	.section	.rodata,"a",@progbits
	.p2align	6, 0x0
	.amdhsa_kernel bluestein_single_back_len1088_dim1_dp_op_CI_CI
		.amdhsa_group_segment_fixed_size 52224
		.amdhsa_private_segment_fixed_size 0
		.amdhsa_kernarg_size 104
		.amdhsa_user_sgpr_count 2
		.amdhsa_user_sgpr_dispatch_ptr 0
		.amdhsa_user_sgpr_queue_ptr 0
		.amdhsa_user_sgpr_kernarg_segment_ptr 1
		.amdhsa_user_sgpr_dispatch_id 0
		.amdhsa_user_sgpr_kernarg_preload_length 0
		.amdhsa_user_sgpr_kernarg_preload_offset 0
		.amdhsa_user_sgpr_private_segment_size 0
		.amdhsa_uses_dynamic_stack 0
		.amdhsa_enable_private_segment 0
		.amdhsa_system_sgpr_workgroup_id_x 1
		.amdhsa_system_sgpr_workgroup_id_y 0
		.amdhsa_system_sgpr_workgroup_id_z 0
		.amdhsa_system_sgpr_workgroup_info 0
		.amdhsa_system_vgpr_workitem_id 0
		.amdhsa_next_free_vgpr 380
		.amdhsa_next_free_sgpr 60
		.amdhsa_accum_offset 256
		.amdhsa_reserve_vcc 1
		.amdhsa_float_round_mode_32 0
		.amdhsa_float_round_mode_16_64 0
		.amdhsa_float_denorm_mode_32 3
		.amdhsa_float_denorm_mode_16_64 3
		.amdhsa_dx10_clamp 1
		.amdhsa_ieee_mode 1
		.amdhsa_fp16_overflow 0
		.amdhsa_tg_split 0
		.amdhsa_exception_fp_ieee_invalid_op 0
		.amdhsa_exception_fp_denorm_src 0
		.amdhsa_exception_fp_ieee_div_zero 0
		.amdhsa_exception_fp_ieee_overflow 0
		.amdhsa_exception_fp_ieee_underflow 0
		.amdhsa_exception_fp_ieee_inexact 0
		.amdhsa_exception_int_div_zero 0
	.end_amdhsa_kernel
	.text
.Lfunc_end0:
	.size	bluestein_single_back_len1088_dim1_dp_op_CI_CI, .Lfunc_end0-bluestein_single_back_len1088_dim1_dp_op_CI_CI
                                        ; -- End function
	.section	.AMDGPU.csdata,"",@progbits
; Kernel info:
; codeLenInByte = 27572
; NumSgprs: 66
; NumVgprs: 256
; NumAgprs: 124
; TotalNumVgprs: 380
; ScratchSize: 0
; MemoryBound: 0
; FloatMode: 240
; IeeeMode: 1
; LDSByteSize: 52224 bytes/workgroup (compile time only)
; SGPRBlocks: 8
; VGPRBlocks: 47
; NumSGPRsForWavesPerEU: 66
; NumVGPRsForWavesPerEU: 380
; AccumOffset: 256
; Occupancy: 1
; WaveLimiterHint : 1
; COMPUTE_PGM_RSRC2:SCRATCH_EN: 0
; COMPUTE_PGM_RSRC2:USER_SGPR: 2
; COMPUTE_PGM_RSRC2:TRAP_HANDLER: 0
; COMPUTE_PGM_RSRC2:TGID_X_EN: 1
; COMPUTE_PGM_RSRC2:TGID_Y_EN: 0
; COMPUTE_PGM_RSRC2:TGID_Z_EN: 0
; COMPUTE_PGM_RSRC2:TIDIG_COMP_CNT: 0
; COMPUTE_PGM_RSRC3_GFX90A:ACCUM_OFFSET: 63
; COMPUTE_PGM_RSRC3_GFX90A:TG_SPLIT: 0
	.text
	.p2alignl 6, 3212836864
	.fill 256, 4, 3212836864
	.type	__hip_cuid_93d063c0f66874ea,@object ; @__hip_cuid_93d063c0f66874ea
	.section	.bss,"aw",@nobits
	.globl	__hip_cuid_93d063c0f66874ea
__hip_cuid_93d063c0f66874ea:
	.byte	0                               ; 0x0
	.size	__hip_cuid_93d063c0f66874ea, 1

	.ident	"AMD clang version 19.0.0git (https://github.com/RadeonOpenCompute/llvm-project roc-6.4.0 25133 c7fe45cf4b819c5991fe208aaa96edf142730f1d)"
	.section	".note.GNU-stack","",@progbits
	.addrsig
	.addrsig_sym __hip_cuid_93d063c0f66874ea
	.amdgpu_metadata
---
amdhsa.kernels:
  - .agpr_count:     124
    .args:
      - .actual_access:  read_only
        .address_space:  global
        .offset:         0
        .size:           8
        .value_kind:     global_buffer
      - .actual_access:  read_only
        .address_space:  global
        .offset:         8
        .size:           8
        .value_kind:     global_buffer
      - .actual_access:  read_only
        .address_space:  global
        .offset:         16
        .size:           8
        .value_kind:     global_buffer
      - .actual_access:  read_only
        .address_space:  global
        .offset:         24
        .size:           8
        .value_kind:     global_buffer
      - .actual_access:  read_only
        .address_space:  global
        .offset:         32
        .size:           8
        .value_kind:     global_buffer
      - .offset:         40
        .size:           8
        .value_kind:     by_value
      - .address_space:  global
        .offset:         48
        .size:           8
        .value_kind:     global_buffer
      - .address_space:  global
        .offset:         56
        .size:           8
        .value_kind:     global_buffer
      - .address_space:  global
        .offset:         64
        .size:           8
        .value_kind:     global_buffer
      - .address_space:  global
        .offset:         72
        .size:           8
        .value_kind:     global_buffer
      - .offset:         80
        .size:           4
        .value_kind:     by_value
      - .address_space:  global
        .offset:         88
        .size:           8
        .value_kind:     global_buffer
      - .address_space:  global
        .offset:         96
        .size:           8
        .value_kind:     global_buffer
    .group_segment_fixed_size: 52224
    .kernarg_segment_align: 8
    .kernarg_segment_size: 104
    .language:       OpenCL C
    .language_version:
      - 2
      - 0
    .max_flat_workgroup_size: 204
    .name:           bluestein_single_back_len1088_dim1_dp_op_CI_CI
    .private_segment_fixed_size: 0
    .sgpr_count:     66
    .sgpr_spill_count: 0
    .symbol:         bluestein_single_back_len1088_dim1_dp_op_CI_CI.kd
    .uniform_work_group_size: 1
    .uses_dynamic_stack: false
    .vgpr_count:     380
    .vgpr_spill_count: 0
    .wavefront_size: 64
amdhsa.target:   amdgcn-amd-amdhsa--gfx950
amdhsa.version:
  - 1
  - 2
...

	.end_amdgpu_metadata
